;; amdgpu-corpus repo=ROCm/rocFFT kind=compiled arch=gfx1030 opt=O3
	.text
	.amdgcn_target "amdgcn-amd-amdhsa--gfx1030"
	.amdhsa_code_object_version 6
	.protected	bluestein_single_back_len135_dim1_half_op_CI_CI ; -- Begin function bluestein_single_back_len135_dim1_half_op_CI_CI
	.globl	bluestein_single_back_len135_dim1_half_op_CI_CI
	.p2align	8
	.type	bluestein_single_back_len135_dim1_half_op_CI_CI,@function
bluestein_single_back_len135_dim1_half_op_CI_CI: ; @bluestein_single_back_len135_dim1_half_op_CI_CI
; %bb.0:
	s_load_dwordx4 s[16:19], s[4:5], 0x28
	v_mul_u32_u24_e32 v1, 0x1c72, v0
	s_mov_b32 s0, exec_lo
	v_lshrrev_b32_e32 v3, 16, v1
	v_mad_u64_u32 v[1:2], null, s6, 14, v[3:4]
	v_mov_b32_e32 v2, 0
	s_waitcnt lgkmcnt(0)
	v_cmpx_gt_u64_e64 s[16:17], v[1:2]
	s_cbranch_execz .LBB0_2
; %bb.1:
	s_clause 0x1
	s_load_dwordx4 s[0:3], s[4:5], 0x18
	s_load_dwordx4 s[8:11], s[4:5], 0x0
	v_mul_lo_u16 v2, v3, 9
	s_mov_b32 s26, 0xc901e574
	s_mov_b32 s27, 0x3f7e573a
	v_sub_nc_u16 v0, v0, v2
	v_and_b32_e32 v56, 0xffff, v0
	v_lshlrev_b32_e32 v32, 2, v56
	s_waitcnt lgkmcnt(0)
	s_load_dwordx4 s[12:15], s[0:1], 0x0
	s_add_u32 s6, s8, 0x21c
	s_addc_u32 s7, s9, 0
	s_clause 0x1
	global_load_dword v48, v32, s[8:9]
	global_load_dword v49, v32, s[8:9] offset:108
	s_waitcnt lgkmcnt(0)
	v_mad_u64_u32 v[2:3], null, s14, v1, 0
	v_mad_u64_u32 v[4:5], null, s12, v56, 0
	s_mul_i32 s1, s13, 0x6c
	s_mul_hi_u32 s14, s12, 0x6c
	s_mul_i32 s0, s12, 0x6c
	s_add_i32 s1, s14, s1
	v_mad_u64_u32 v[6:7], null, s15, v1, v[3:4]
	v_mad_u64_u32 v[7:8], null, s13, v56, v[5:6]
	v_mov_b32_e32 v3, v6
	s_mulk_i32 s13, 0xfe74
	s_sub_i32 s13, s13, s12
	v_lshlrev_b64 v[2:3], 2, v[2:3]
	v_mov_b32_e32 v5, v7
	v_add_co_u32 v2, vcc_lo, s18, v2
	v_lshlrev_b64 v[4:5], 2, v[4:5]
	v_add_co_ci_u32_e32 v3, vcc_lo, s19, v3, vcc_lo
	v_add_co_u32 v2, vcc_lo, v2, v4
	v_add_co_ci_u32_e32 v3, vcc_lo, v3, v5, vcc_lo
	v_add_co_u32 v4, null, v56, 18
	v_add_co_u32 v6, vcc_lo, v2, s0
	v_add_co_ci_u32_e32 v7, vcc_lo, s1, v3, vcc_lo
	global_load_dword v5, v[2:3], off
	v_add_co_u32 v8, vcc_lo, v6, s0
	v_add_co_ci_u32_e32 v9, vcc_lo, s1, v7, vcc_lo
	global_load_dword v3, v[6:7], off
	;; [unrolled: 3-line block ×3, first 2 shown]
	global_load_dword v50, v32, s[8:9] offset:216
	v_add_co_u32 v12, vcc_lo, v10, s0
	v_add_co_ci_u32_e32 v13, vcc_lo, s1, v11, vcc_lo
	global_load_dword v9, v[10:11], off
	global_load_dword v51, v32, s[8:9] offset:324
	global_load_dword v7, v[12:13], off
	global_load_dword v52, v32, s[8:9] offset:432
	v_mad_u64_u32 v[14:15], null, 0xfffffe74, s12, v[12:13]
	s_clause 0x1
	global_load_dword v53, v32, s[8:9] offset:36
	global_load_dword v55, v32, s[8:9] offset:144
	v_lshrrev_b32_e32 v2, 1, v1
	v_mul_lo_u16 v8, v0, 5
	v_and_b32_e32 v27, 0xff, v4
	v_mul_u32_u24_e32 v28, 5, v4
	v_add_nc_u32_e32 v15, s13, v15
	v_add_co_u32 v11, vcc_lo, v14, s0
	v_mul_hi_u32 v2, 0x92492493, v2
	v_mul_lo_u16 v27, 0xcd, v27
	v_add_co_ci_u32_e32 v12, vcc_lo, s1, v15, vcc_lo
	v_add_co_u32 v13, vcc_lo, v11, s0
	global_load_dword v10, v[14:15], off
	v_add_co_ci_u32_e32 v14, vcc_lo, s1, v12, vcc_lo
	v_add_co_u32 v15, vcc_lo, v13, s0
	global_load_dword v11, v[11:12], off
	;; [unrolled: 3-line block ×3, first 2 shown]
	global_load_dword v54, v32, s[8:9] offset:252
	v_add_co_ci_u32_e32 v18, vcc_lo, s1, v16, vcc_lo
	s_clause 0x1
	global_load_dword v46, v32, s[8:9] offset:360
	global_load_dword v43, v32, s[8:9] offset:180
	global_load_dword v13, v[15:16], off
	s_clause 0x2
	global_load_dword v44, v32, s[8:9] offset:72
	global_load_dword v45, v32, s[8:9] offset:468
	;; [unrolled: 1-line block ×3, first 2 shown]
	global_load_dword v19, v[17:18], off
	global_load_dword v41, v32, s[8:9] offset:396
	v_lshrrev_b32_e32 v22, 2, v2
	v_mad_u64_u32 v[20:21], null, 0xfffffe74, s12, v[17:18]
	v_add_co_u32 v2, null, v56, 36
	v_mul_lo_u32 v24, v22, 14
	v_lshrrev_b16 v61, 10, v27
	v_and_b32_e32 v39, 0xff, v2
	v_add_nc_u32_e32 v21, s13, v21
	v_add_co_u32 v14, vcc_lo, v20, s0
	v_sub_nc_u32_e32 v24, v1, v24
	v_add_co_ci_u32_e32 v15, vcc_lo, s1, v21, vcc_lo
	global_load_dword v18, v[20:21], off
	v_add_co_u32 v20, vcc_lo, v14, s0
	v_add_co_ci_u32_e32 v21, vcc_lo, s1, v15, vcc_lo
	global_load_dword v17, v[14:15], off
	v_add_co_u32 v15, vcc_lo, v20, s0
	;; [unrolled: 3-line block ×3, first 2 shown]
	v_add_co_ci_u32_e32 v21, vcc_lo, s1, v16, vcc_lo
	global_load_dword v42, v32, s[8:9] offset:288
	global_load_dword v16, v[15:16], off
	global_load_dword v15, v[20:21], off
	v_add_co_u32 v21, s0, v56, -5
	v_add_co_ci_u32_e64 v23, null, 0, -1, s0
	v_add_co_u32 v36, s0, v56, 9
	v_and_b32_e32 v20, 0xffff, v8
	v_add_co_u32 v8, null, v56, 27
	v_and_b32_e32 v25, 0xff, v36
	v_mul_lo_u16 v29, 0xcd, v39
	v_mul_u32_u24_e32 v24, 0x87, v24
	v_and_b32_e32 v57, 0xff, v8
	s_load_dwordx4 s[28:31], s[2:3], 0x0
	v_mul_lo_u16 v25, 0xcd, v25
	v_lshrrev_b16 v58, 10, v29
	v_mul_lo_u16 v29, v61, 5
	v_mul_lo_u16 v30, 0xcd, v57
	v_lshlrev_b32_e32 v37, 2, v24
	v_lshrrev_b16 v60, 10, v25
	v_mul_lo_u16 v25, v58, 5
	v_sub_nc_u16 v65, v4, v29
	v_lshrrev_b16 v62, 10, v30
	v_lshl_add_u32 v33, v20, 2, v37
	v_mul_lo_u16 v27, v60, 5
	v_sub_nc_u16 v63, v2, v25
	v_add_nc_u32_e32 v47, v32, v37
	v_mul_lo_u16 v30, v62, 5
	v_mul_u32_u24_e32 v26, 5, v36
	v_sub_nc_u16 v64, v36, v27
	v_lshl_add_u32 v34, v28, 2, v37
	v_cmp_gt_u16_e32 vcc_lo, 5, v0
	v_sub_nc_u16 v66, v8, v30
	v_lshl_add_u32 v35, v26, 2, v37
	v_add_co_ci_u32_e64 v38, null, 0, 0, s0
	v_cndmask_b32_e32 v21, v21, v56, vcc_lo
	v_cndmask_b32_e64 v22, v23, 0, vcc_lo
	v_mad_u16 v62, v62, 15, v66
	s_waitcnt lgkmcnt(0)
	s_mul_i32 s2, s29, 0x6c
	s_mul_hi_u32 s3, s28, 0x6c
	v_lshlrev_b64 v[22:23], 3, v[21:22]
	v_add_co_u32 v22, vcc_lo, s10, v22
	v_add_co_ci_u32_e32 v23, vcc_lo, s11, v23, vcc_lo
	v_cmp_gt_u16_e32 vcc_lo, 6, v0
	s_waitcnt vmcnt(27)
	v_lshrrev_b32_e32 v24, 16, v5
	v_mul_f16_sdwa v25, v48, v5 dst_sel:DWORD dst_unused:UNUSED_PAD src0_sel:WORD_1 src1_sel:DWORD
	v_mul_f16_sdwa v27, v48, v24 dst_sel:DWORD dst_unused:UNUSED_PAD src0_sel:WORD_1 src1_sel:DWORD
	s_waitcnt vmcnt(26)
	v_lshrrev_b32_e32 v29, 16, v3
	v_mul_f16_sdwa v30, v49, v3 dst_sel:DWORD dst_unused:UNUSED_PAD src0_sel:WORD_1 src1_sel:DWORD
	v_fma_f16 v20, v48, v24, -v25
	s_waitcnt vmcnt(25)
	v_lshrrev_b32_e32 v25, 16, v6
	v_fmac_f16_e32 v27, v48, v5
	v_mul_f16_sdwa v5, v49, v29 dst_sel:DWORD dst_unused:UNUSED_PAD src0_sel:WORD_1 src1_sel:DWORD
	v_fma_f16 v24, v49, v29, -v30
	s_waitcnt vmcnt(24)
	v_mul_f16_sdwa v29, v50, v6 dst_sel:DWORD dst_unused:UNUSED_PAD src0_sel:WORD_1 src1_sel:DWORD
	v_pack_b32_f16 v20, v27, v20
	v_fmac_f16_e32 v5, v49, v3
	s_waitcnt vmcnt(23)
	v_lshrrev_b32_e32 v3, 16, v9
	v_mul_f16_sdwa v27, v50, v25 dst_sel:DWORD dst_unused:UNUSED_PAD src0_sel:WORD_1 src1_sel:DWORD
	v_fma_f16 v25, v50, v25, -v29
	s_waitcnt vmcnt(22)
	v_mul_f16_sdwa v29, v51, v9 dst_sel:DWORD dst_unused:UNUSED_PAD src0_sel:WORD_1 src1_sel:DWORD
	v_pack_b32_f16 v5, v5, v24
	v_mul_f16_sdwa v24, v51, v3 dst_sel:DWORD dst_unused:UNUSED_PAD src0_sel:WORD_1 src1_sel:DWORD
	s_waitcnt vmcnt(21)
	v_lshrrev_b32_e32 v30, 16, v7
	v_fmac_f16_e32 v27, v50, v6
	v_fma_f16 v3, v51, v3, -v29
	s_waitcnt vmcnt(20)
	v_mul_f16_sdwa v6, v52, v7 dst_sel:DWORD dst_unused:UNUSED_PAD src0_sel:WORD_1 src1_sel:DWORD
	v_fmac_f16_e32 v24, v51, v9
	v_mul_f16_sdwa v9, v52, v30 dst_sel:DWORD dst_unused:UNUSED_PAD src0_sel:WORD_1 src1_sel:DWORD
	ds_write_b32 v47, v5 offset:108
	v_pack_b32_f16 v5, v27, v25
	v_fma_f16 v6, v52, v30, -v6
	v_pack_b32_f16 v3, v24, v3
	v_fmac_f16_e32 v9, v52, v7
	ds_write_b32 v47, v5 offset:216
	s_waitcnt vmcnt(17)
	v_lshrrev_b32_e32 v7, 16, v10
	v_mul_f16_sdwa v5, v53, v10 dst_sel:DWORD dst_unused:UNUSED_PAD src0_sel:WORD_1 src1_sel:DWORD
	ds_write_b32 v47, v3 offset:324
	v_pack_b32_f16 v3, v9, v6
	v_mul_f16_sdwa v6, v53, v7 dst_sel:DWORD dst_unused:UNUSED_PAD src0_sel:WORD_1 src1_sel:DWORD
	s_waitcnt vmcnt(16)
	v_lshrrev_b32_e32 v9, 16, v11
	v_fma_f16 v5, v53, v7, -v5
	v_mul_f16_sdwa v7, v55, v11 dst_sel:DWORD dst_unused:UNUSED_PAD src0_sel:WORD_1 src1_sel:DWORD
	ds_write_b32 v47, v3 offset:432
	v_fmac_f16_e32 v6, v53, v10
	v_mul_f16_sdwa v3, v55, v9 dst_sel:DWORD dst_unused:UNUSED_PAD src0_sel:WORD_1 src1_sel:DWORD
	s_waitcnt vmcnt(15)
	v_lshrrev_b32_e32 v10, 16, v12
	s_waitcnt vmcnt(14)
	v_mul_f16_sdwa v24, v54, v12 dst_sel:DWORD dst_unused:UNUSED_PAD src0_sel:WORD_1 src1_sel:DWORD
	v_fma_f16 v7, v55, v9, -v7
	v_pack_b32_f16 v5, v6, v5
	v_fmac_f16_e32 v3, v55, v11
	v_mul_f16_sdwa v6, v54, v10 dst_sel:DWORD dst_unused:UNUSED_PAD src0_sel:WORD_1 src1_sel:DWORD
	v_fma_f16 v9, v54, v10, -v24
	s_waitcnt vmcnt(11)
	v_lshrrev_b32_e32 v10, 16, v13
	v_mul_f16_sdwa v11, v46, v13 dst_sel:DWORD dst_unused:UNUSED_PAD src0_sel:WORD_1 src1_sel:DWORD
	ds_write2_b32 v47, v20, v5 offset1:9
	v_pack_b32_f16 v3, v3, v7
	s_waitcnt vmcnt(7)
	v_lshrrev_b32_e32 v5, 16, v19
	v_mul_f16_sdwa v7, v46, v10 dst_sel:DWORD dst_unused:UNUSED_PAD src0_sel:WORD_1 src1_sel:DWORD
	v_fmac_f16_e32 v6, v54, v12
	v_mul_f16_sdwa v12, v45, v19 dst_sel:DWORD dst_unused:UNUSED_PAD src0_sel:WORD_1 src1_sel:DWORD
	v_fma_f16 v10, v46, v10, -v11
	v_mul_f16_sdwa v11, v45, v5 dst_sel:DWORD dst_unused:UNUSED_PAD src0_sel:WORD_1 src1_sel:DWORD
	v_fmac_f16_e32 v7, v46, v13
	v_pack_b32_f16 v6, v6, v9
	s_waitcnt vmcnt(5)
	v_lshrrev_b32_e32 v9, 16, v18
	v_fma_f16 v5, v45, v5, -v12
	v_fmac_f16_e32 v11, v45, v19
	v_pack_b32_f16 v7, v7, v10
	v_mul_f16_sdwa v10, v44, v18 dst_sel:DWORD dst_unused:UNUSED_PAD src0_sel:WORD_1 src1_sel:DWORD
	s_waitcnt vmcnt(4)
	v_lshrrev_b32_e32 v12, 16, v17
	v_mul_f16_sdwa v13, v44, v9 dst_sel:DWORD dst_unused:UNUSED_PAD src0_sel:WORD_1 src1_sel:DWORD
	v_pack_b32_f16 v5, v11, v5
	v_mul_f16_sdwa v11, v43, v17 dst_sel:DWORD dst_unused:UNUSED_PAD src0_sel:WORD_1 src1_sel:DWORD
	v_fma_f16 v9, v44, v9, -v10
	v_mul_f16_sdwa v10, v43, v12 dst_sel:DWORD dst_unused:UNUSED_PAD src0_sel:WORD_1 src1_sel:DWORD
	v_fmac_f16_e32 v13, v44, v18
	s_waitcnt vmcnt(3)
	v_lshrrev_b32_e32 v18, 16, v14
	v_fma_f16 v11, v43, v12, -v11
	s_waitcnt vmcnt(2)
	v_mul_f16_sdwa v12, v42, v14 dst_sel:DWORD dst_unused:UNUSED_PAD src0_sel:WORD_1 src1_sel:DWORD
	v_fmac_f16_e32 v10, v43, v17
	s_waitcnt vmcnt(1)
	v_lshrrev_b32_e32 v17, 16, v16
	s_waitcnt vmcnt(0)
	v_lshrrev_b32_e32 v20, 16, v15
	v_mul_f16_sdwa v19, v42, v18 dst_sel:DWORD dst_unused:UNUSED_PAD src0_sel:WORD_1 src1_sel:DWORD
	v_fma_f16 v12, v42, v18, -v12
	v_mul_f16_sdwa v18, v41, v16 dst_sel:DWORD dst_unused:UNUSED_PAD src0_sel:WORD_1 src1_sel:DWORD
	v_mul_f16_sdwa v24, v41, v17 dst_sel:DWORD dst_unused:UNUSED_PAD src0_sel:WORD_1 src1_sel:DWORD
	;; [unrolled: 1-line block ×4, first 2 shown]
	v_fmac_f16_e32 v19, v42, v14
	v_fma_f16 v14, v41, v17, -v18
	v_fmac_f16_e32 v24, v41, v16
	v_fma_f16 v16, v40, v20, -v25
	v_fmac_f16_e32 v27, v40, v15
	v_pack_b32_f16 v9, v13, v9
	v_pack_b32_f16 v10, v10, v11
	;; [unrolled: 1-line block ×5, first 2 shown]
	ds_write_b32 v47, v9 offset:72
	ds_write2_b32 v47, v3, v10 offset0:36 offset1:45
	ds_write2_b32 v47, v6, v11 offset0:63 offset1:72
	;; [unrolled: 1-line block ×4, first 2 shown]
	s_waitcnt lgkmcnt(0)
	s_barrier
	buffer_gl0_inv
	ds_read2_b32 v[5:6], v47 offset1:9
	ds_read2_b32 v[9:10], v47 offset0:36 offset1:45
	ds_read2_b32 v[11:12], v47 offset0:54 offset1:63
	;; [unrolled: 1-line block ×6, first 2 shown]
	ds_read_b32 v26, v47 offset:504
	v_lshlrev_b16 v3, 1, v63
	v_lshlrev_b16 v7, 1, v64
	;; [unrolled: 1-line block ×4, first 2 shown]
	s_waitcnt lgkmcnt(0)
	v_and_b32_e32 v3, 0xfe, v3
	v_and_b32_e32 v7, 0xfe, v7
	;; [unrolled: 1-line block ×3, first 2 shown]
	s_barrier
	buffer_gl0_inv
	v_lshlrev_b32_e32 v3, 2, v3
	v_lshlrev_b32_e32 v7, 2, v7
	v_pk_add_f16 v27, v6, v9
	v_pk_add_f16 v31, v9, v12 neg_lo:[0,1] neg_hi:[0,1]
	v_pk_add_f16 v28, v12, v13
	v_pk_add_f16 v29, v9, v16 neg_lo:[0,1] neg_hi:[0,1]
	v_pk_add_f16 v30, v12, v13 neg_lo:[0,1] neg_hi:[0,1]
	;; [unrolled: 1-line block ×3, first 2 shown]
	v_pk_add_f16 v67, v9, v16
	v_pk_add_f16 v69, v17, v10
	;; [unrolled: 1-line block ×4, first 2 shown]
	v_pk_add_f16 v72, v18, v15 neg_lo:[0,1] neg_hi:[0,1]
	v_pk_add_f16 v73, v11, v20 neg_lo:[0,1] neg_hi:[0,1]
	v_pk_add_f16 v74, v18, v15
	v_pk_add_f16 v9, v12, v9 neg_lo:[0,1] neg_hi:[0,1]
	v_pk_add_f16 v68, v13, v16 neg_lo:[0,1] neg_hi:[0,1]
	;; [unrolled: 1-line block ×3, first 2 shown]
	v_pk_add_f16 v76, v19, v14
	v_pk_add_f16 v77, v10, v26
	v_pk_add_f16 v18, v11, v18 neg_lo:[0,1] neg_hi:[0,1]
	v_pk_add_f16 v78, v10, v26 neg_lo:[0,1] neg_hi:[0,1]
	;; [unrolled: 1-line block ×6, first 2 shown]
	v_pk_fma_f16 v28, v28, 0.5, v6 op_sel_hi:[1,0,1] neg_lo:[1,0,0] neg_hi:[1,0,0]
	v_pk_fma_f16 v6, v67, 0.5, v6 op_sel_hi:[1,0,1] neg_lo:[1,0,0] neg_hi:[1,0,0]
	;; [unrolled: 1-line block ×3, first 2 shown]
	v_pk_add_f16 v12, v27, v12
	v_pk_add_f16 v11, v70, v11
	;; [unrolled: 1-line block ×4, first 2 shown]
	v_pk_mul_f16 v59, 0x3b9c, v29 op_sel_hi:[0,1]
	v_pk_mul_f16 v69, 0x38b4, v30 op_sel_hi:[0,1]
	;; [unrolled: 1-line block ×4, first 2 shown]
	v_pk_fma_f16 v5, v74, 0.5, v5 op_sel_hi:[1,0,1] neg_lo:[1,0,0] neg_hi:[1,0,0]
	v_pk_mul_f16 v74, 0x3b9c, v73 op_sel_hi:[0,1]
	v_pk_add_f16 v81, v26, v14 neg_lo:[0,1] neg_hi:[0,1]
	v_pk_add_f16 v82, v14, v26 neg_lo:[0,1] neg_hi:[0,1]
	v_pk_add_f16 v84, v20, v15 neg_lo:[0,1] neg_hi:[0,1]
	v_pk_fma_f16 v27, v76, 0.5, v17 op_sel_hi:[1,0,1] neg_lo:[1,0,0] neg_hi:[1,0,0]
	v_pk_fma_f16 v17, v77, 0.5, v17 op_sel_hi:[1,0,1] neg_lo:[1,0,0] neg_hi:[1,0,0]
	v_pk_add_f16 v9, v9, v68
	v_pk_add_f16 v68, v75, v83
	v_pk_mul_f16 v75, 0x3b9c, v78 op_sel_hi:[0,1]
	v_pk_mul_f16 v76, 0x3b9c, v79 op_sel_hi:[0,1]
	;; [unrolled: 1-line block ×4, first 2 shown]
	v_pk_add_f16 v12, v12, v13
	v_pk_add_f16 v13, v19, v14
	;; [unrolled: 1-line block ×3, first 2 shown]
	v_pk_add_f16 v14, v28, v59 op_sel:[0,1] op_sel_hi:[1,0]
	v_pk_add_f16 v19, v28, v59 op_sel:[0,1] op_sel_hi:[1,0] neg_lo:[0,1] neg_hi:[0,1]
	v_pk_add_f16 v20, v6, v30 op_sel:[0,1] op_sel_hi:[1,0] neg_lo:[0,1] neg_hi:[0,1]
	v_pk_add_f16 v6, v6, v30 op_sel:[0,1] op_sel_hi:[1,0]
	v_pk_add_f16 v28, v67, v70 op_sel:[0,1] op_sel_hi:[1,0]
	v_pk_add_f16 v30, v67, v70 op_sel:[0,1] op_sel_hi:[1,0] neg_lo:[0,1] neg_hi:[0,1]
	v_pk_mul_f16 v72, 0x38b4, v72 op_sel_hi:[0,1]
	v_pk_add_f16 v59, v5, v74 op_sel:[0,1] op_sel_hi:[1,0] neg_lo:[0,1] neg_hi:[0,1]
	v_pk_add_f16 v5, v5, v74 op_sel:[0,1] op_sel_hi:[1,0]
	v_pk_mul_f16 v77, 0x38b4, v79 op_sel_hi:[0,1]
	v_pk_mul_f16 v78, 0x38b4, v78 op_sel_hi:[0,1]
	v_pk_add_f16 v67, v27, v75 op_sel:[0,1] op_sel_hi:[1,0]
	v_pk_add_f16 v27, v27, v75 op_sel:[0,1] op_sel_hi:[1,0] neg_lo:[0,1] neg_hi:[0,1]
	v_pk_add_f16 v70, v17, v76 op_sel:[0,1] op_sel_hi:[1,0] neg_lo:[0,1] neg_hi:[0,1]
	v_pk_add_f16 v17, v17, v76 op_sel:[0,1] op_sel_hi:[1,0]
	v_pk_add_f16 v14, v14, v69 op_sel:[0,1] op_sel_hi:[1,0]
	v_pk_add_f16 v19, v19, v69 op_sel:[0,1] op_sel_hi:[1,0] neg_lo:[0,1] neg_hi:[0,1]
	v_pk_add_f16 v20, v20, v29 op_sel:[0,1] op_sel_hi:[1,0]
	v_pk_add_f16 v6, v6, v29 op_sel:[0,1] op_sel_hi:[1,0] neg_lo:[0,1] neg_hi:[0,1]
	v_pk_add_f16 v12, v12, v16
	v_pk_add_f16 v11, v11, v15
	v_pk_add_f16 v15, v28, v73 op_sel:[0,1] op_sel_hi:[1,0]
	v_pk_add_f16 v16, v30, v73 op_sel:[0,1] op_sel_hi:[1,0] neg_lo:[0,1] neg_hi:[0,1]
	v_pk_add_f16 v13, v13, v26
	v_pk_add_f16 v26, v59, v72 op_sel:[0,1] op_sel_hi:[1,0]
	v_pk_add_f16 v5, v5, v72 op_sel:[0,1] op_sel_hi:[1,0] neg_lo:[0,1] neg_hi:[0,1]
	v_pk_add_f16 v28, v67, v77 op_sel:[0,1] op_sel_hi:[1,0]
	v_pk_add_f16 v27, v27, v77 op_sel:[0,1] op_sel_hi:[1,0] neg_lo:[0,1] neg_hi:[0,1]
	;; [unrolled: 2-line block ×3, first 2 shown]
	v_bfi_b32 v30, 0xffff, v14, v19
	v_bfi_b32 v59, 0xffff, v20, v6
	;; [unrolled: 1-line block ×5, first 2 shown]
	v_pk_add_f16 v18, v18, v84
	v_bfi_b32 v20, 0xffff, v26, v5
	v_bfi_b32 v5, 0xffff, v5, v26
	;; [unrolled: 1-line block ×3, first 2 shown]
	v_pk_add_f16 v71, v80, v81
	v_pk_add_f16 v10, v10, v82
	v_bfi_b32 v16, 0xffff, v28, v27
	v_bfi_b32 v26, 0xffff, v29, v17
	;; [unrolled: 1-line block ×4, first 2 shown]
	v_pk_fma_f16 v29, 0x34f2, v9, v59 op_sel_hi:[0,1,1]
	v_pk_fma_f16 v6, 0x34f2, v9, v6 op_sel_hi:[0,1,1]
	;; [unrolled: 1-line block ×12, first 2 shown]
	ds_write2_b32 v33, v11, v14 offset1:1
	ds_write2_b32 v33, v19, v5 offset0:2 offset1:3
	ds_write_b32 v33, v15 offset:16
	ds_write2_b32 v35, v12, v28 offset1:1
	ds_write2_b32 v35, v29, v6 offset0:2 offset1:3
	ds_write_b32 v35, v9 offset:16
	;; [unrolled: 3-line block ×3, first 2 shown]
	s_waitcnt lgkmcnt(0)
	s_barrier
	buffer_gl0_inv
	global_load_dwordx2 v[30:31], v3, s[10:11]
	v_and_b32_e32 v3, 0xfe, v25
	v_lshlrev_b32_e32 v5, 2, v24
	s_clause 0x2
	global_load_dwordx2 v[22:23], v[22:23], off
	global_load_dwordx2 v[24:25], v7, s[10:11]
	global_load_dwordx2 v[26:27], v5, s[10:11]
	v_lshlrev_b32_e32 v3, 2, v3
	v_add_co_u32 v5, s0, v56, -6
	v_add_co_ci_u32_e64 v7, null, 0, -1, s0
	global_load_dwordx2 v[28:29], v3, s[10:11]
	v_mul_lo_u16 v9, 0x89, v39
	v_cmp_lt_u16_e64 s0, 4, v0
	v_cndmask_b32_e32 v6, v5, v36, vcc_lo
	v_cndmask_b32_e32 v7, v7, v38, vcc_lo
	v_mul_lo_u16 v11, 0x89, v57
	v_lshrrev_b16 v12, 11, v9
	v_cndmask_b32_e64 v10, 0, 15, s0
	v_mov_b32_e32 v3, 3
	v_lshlrev_b32_e32 v5, 3, v56
	v_lshlrev_b32_e32 v36, 3, v36
	v_mul_lo_u16 v57, v12, 15
	v_add_nc_u32_e32 v21, v21, v10
	v_lshlrev_b64 v[9:10], 3, v[6:7]
	v_lshrrev_b16 v7, 11, v11
	ds_read2_b32 v[11:12], v47 offset0:72 offset1:81
	ds_read_b32 v67, v47 offset:504
	ds_read2_b32 v[13:14], v47 offset0:36 offset1:45
	ds_read2_b32 v[15:16], v47 offset0:90 offset1:99
	;; [unrolled: 1-line block ×4, first 2 shown]
	ds_read2_b32 v[38:39], v47 offset1:9
	v_sub_nc_u16 v70, v2, v57
	v_mul_lo_u16 v59, v7, 15
	v_add_co_u32 v9, vcc_lo, s10, v9
	v_add_co_ci_u32_e32 v10, vcc_lo, s11, v10, vcc_lo
	v_sub_nc_u16 v71, v8, v59
	v_lshl_add_u32 v59, v21, 2, v37
	v_mad_u16 v21, v60, 15, v64
	v_mad_u16 v60, v61, 15, v65
	;; [unrolled: 1-line block ×3, first 2 shown]
	ds_read2_b32 v[57:58], v47 offset0:18 offset1:27
	v_lshlrev_b32_sdwa v3, v3, v71 dst_sel:DWORD dst_unused:UNUSED_PAD src0_sel:DWORD src1_sel:BYTE_0
	v_and_b32_e32 v21, 0xff, v21
	v_and_b32_e32 v60, 0xff, v60
	s_waitcnt lgkmcnt(7)
	v_lshrrev_b32_e32 v63, 16, v12
	s_waitcnt lgkmcnt(4)
	v_lshrrev_b32_e32 v69, 16, v16
	;; [unrolled: 2-line block ×3, first 2 shown]
	v_lshrrev_b32_e32 v74, 16, v11
	s_waitcnt lgkmcnt(2)
	v_lshrrev_b32_e32 v75, 16, v19
	v_lshrrev_b32_e32 v64, 16, v67
	;; [unrolled: 1-line block ×7, first 2 shown]
	s_waitcnt lgkmcnt(1)
	v_lshrrev_b32_e32 v77, 16, v39
	v_lshrrev_b32_e32 v78, 16, v38
	s_waitcnt vmcnt(0) lgkmcnt(0)
	s_barrier
	buffer_gl0_inv
	v_cmp_lt_u16_e32 vcc_lo, 5, v0
	v_lshlrev_b32_e32 v2, 3, v2
	v_lshlrev_b32_e32 v8, 3, v8
	v_cndmask_b32_e64 v0, 0, 45, vcc_lo
	v_add_nc_u32_e32 v0, v6, v0
	v_mul_f16_sdwa v79, v63, v30 dst_sel:DWORD dst_unused:UNUSED_PAD src0_sel:DWORD src1_sel:WORD_1
	v_mul_f16_sdwa v81, v12, v30 dst_sel:DWORD dst_unused:UNUSED_PAD src0_sel:DWORD src1_sel:WORD_1
	;; [unrolled: 1-line block ×9, first 2 shown]
	v_fma_f16 v16, v16, v25, -v84
	v_fma_f16 v17, v17, v24, -v86
	v_mul_f16_sdwa v84, v74, v28 dst_sel:DWORD dst_unused:UNUSED_PAD src0_sel:DWORD src1_sel:WORD_1
	v_mul_f16_sdwa v86, v75, v27 dst_sel:DWORD dst_unused:UNUSED_PAD src0_sel:DWORD src1_sel:WORD_1
	v_fma_f16 v79, v12, v30, -v79
	v_mul_f16_sdwa v90, v11, v28 dst_sel:DWORD dst_unused:UNUSED_PAD src0_sel:DWORD src1_sel:WORD_1
	v_mul_f16_sdwa v12, v19, v27 dst_sel:DWORD dst_unused:UNUSED_PAD src0_sel:DWORD src1_sel:WORD_1
	v_fma_f16 v84, v11, v28, -v84
	v_fma_f16 v11, v19, v27, -v86
	v_mul_f16_sdwa v19, v66, v22 dst_sel:DWORD dst_unused:UNUSED_PAD src0_sel:DWORD src1_sel:WORD_1
	v_fmac_f16_e32 v81, v63, v30
	v_fmac_f16_e32 v82, v64, v31
	v_mul_f16_sdwa v85, v15, v23 dst_sel:DWORD dst_unused:UNUSED_PAD src0_sel:DWORD src1_sel:WORD_1
	v_mul_f16_sdwa v87, v73, v26 dst_sel:DWORD dst_unused:UNUSED_PAD src0_sel:DWORD src1_sel:WORD_1
	v_fma_f16 v15, v15, v23, -v83
	v_mul_f16_sdwa v83, v18, v26 dst_sel:DWORD dst_unused:UNUSED_PAD src0_sel:DWORD src1_sel:WORD_1
	v_mul_f16_sdwa v91, v20, v29 dst_sel:DWORD dst_unused:UNUSED_PAD src0_sel:DWORD src1_sel:WORD_1
	v_fma_f16 v67, v67, v31, -v80
	v_mul_f16_sdwa v80, v14, v22 dst_sel:DWORD dst_unused:UNUSED_PAD src0_sel:DWORD src1_sel:WORD_1
	v_fma_f16 v14, v14, v22, -v19
	v_fmac_f16_e32 v88, v69, v25
	v_fmac_f16_e32 v89, v72, v24
	v_add_f16_e32 v63, v81, v82
	v_fma_f16 v18, v18, v26, -v87
	v_mul_f16_sdwa v87, v76, v29 dst_sel:DWORD dst_unused:UNUSED_PAD src0_sel:DWORD src1_sel:WORD_1
	v_fmac_f16_e32 v80, v66, v22
	v_fmac_f16_e32 v85, v68, v23
	;; [unrolled: 1-line block ×5, first 2 shown]
	v_add_f16_e32 v19, v79, v67
	v_add_f16_e32 v68, v65, v81
	;; [unrolled: 1-line block ×3, first 2 shown]
	v_fmac_f16_e32 v65, -0.5, v63
	v_add_f16_e32 v63, v38, v14
	v_fma_f16 v20, v20, v29, -v87
	v_lshrrev_b32_e32 v86, 16, v58
	v_lshrrev_b32_e32 v64, 16, v57
	v_add_f16_e32 v66, v13, v79
	v_add_f16_e32 v69, v17, v16
	;; [unrolled: 1-line block ×4, first 2 shown]
	v_fmac_f16_e32 v13, -0.5, v19
	v_add_f16_e32 v19, v14, v15
	v_fmac_f16_e32 v77, -0.5, v73
	v_add_f16_e32 v73, v80, v85
	v_sub_f16_e32 v14, v14, v15
	v_add_f16_e32 v15, v63, v15
	v_add_f16_e32 v63, v90, v91
	v_fmac_f16_e32 v12, v75, v27
	v_sub_f16_e32 v17, v17, v16
	v_fmac_f16_e32 v39, -0.5, v69
	v_add_f16_e32 v69, v78, v80
	v_sub_f16_e32 v76, v80, v85
	v_add_f16_e32 v80, v84, v20
	v_fmac_f16_e32 v78, -0.5, v73
	v_add_f16_e32 v16, v72, v16
	v_add_f16_e32 v72, v86, v90
	;; [unrolled: 1-line block ×4, first 2 shown]
	v_fmac_f16_e32 v86, -0.5, v63
	v_add_f16_e32 v63, v64, v83
	v_add_f16_e32 v69, v69, v85
	;; [unrolled: 1-line block ×3, first 2 shown]
	v_fmac_f16_e32 v58, -0.5, v80
	v_add_f16_e32 v80, v18, v11
	v_sub_f16_e32 v18, v18, v11
	v_add_f16_e32 v74, v74, v11
	v_add_f16_e32 v11, v83, v12
	v_sub_f16_e32 v83, v83, v12
	v_add_f16_e32 v87, v63, v12
	v_lshlrev_b16 v12, 3, v70
	v_sub_f16_e32 v75, v89, v88
	v_fma_f16 v19, -0.5, v19, v38
	v_lshl_add_u32 v63, v21, 2, v37
	v_sub_f16_e32 v21, v81, v82
	v_sub_f16_e32 v79, v79, v67
	v_and_b32_e32 v12, 0xf8, v12
	v_fmac_f16_e32 v64, -0.5, v11
	v_sub_f16_e32 v81, v84, v20
	v_sub_f16_e32 v84, v90, v91
	v_fma_f16 v57, -0.5, v80, v57
	v_add_f16_e32 v38, v72, v91
	v_fmamk_f16 v72, v75, 0x3aee, v39
	v_fmac_f16_e32 v39, 0xbaee, v75
	v_fmamk_f16 v75, v17, 0xbaee, v77
	v_fmac_f16_e32 v77, 0x3aee, v17
	v_pack_b32_f16 v15, v15, v69
	v_fmamk_f16 v17, v76, 0x3aee, v19
	v_fmamk_f16 v69, v14, 0xbaee, v78
	v_fmac_f16_e32 v19, 0xbaee, v76
	v_fmac_f16_e32 v78, 0x3aee, v14
	v_add_f16_e32 v66, v66, v67
	v_add_f16_e32 v67, v68, v82
	v_fmamk_f16 v68, v21, 0x3aee, v13
	v_fmac_f16_e32 v13, 0xbaee, v21
	v_fmamk_f16 v21, v79, 0xbaee, v65
	v_fmac_f16_e32 v65, 0x3aee, v79
	v_add_co_u32 v11, s0, s10, v12
	v_add_f16_e32 v20, v85, v20
	v_pack_b32_f16 v14, v16, v73
	v_fmamk_f16 v16, v84, 0x3aee, v58
	v_fmamk_f16 v73, v81, 0xbaee, v86
	;; [unrolled: 1-line block ×4, first 2 shown]
	v_and_b32_e32 v88, 0xff, v62
	v_and_b32_e32 v89, 0xff, v61
	v_add_co_ci_u32_e64 v12, null, s11, 0, s0
	v_fmac_f16_e32 v58, 0xbaee, v84
	v_fmac_f16_e32 v86, 0x3aee, v81
	;; [unrolled: 1-line block ×4, first 2 shown]
	v_pack_b32_f16 v17, v17, v69
	v_pack_b32_f16 v19, v19, v78
	;; [unrolled: 1-line block ×5, first 2 shown]
	v_lshl_add_u32 v62, v60, 2, v37
	v_pack_b32_f16 v18, v74, v87
	v_pack_b32_f16 v20, v20, v38
	;; [unrolled: 1-line block ×6, first 2 shown]
	v_lshl_add_u32 v61, v88, 2, v37
	v_lshl_add_u32 v60, v89, 2, v37
	v_pack_b32_f16 v58, v58, v86
	v_pack_b32_f16 v57, v57, v64
	ds_write2_b32 v59, v15, v17 offset1:5
	ds_write_b32 v59, v19 offset:40
	ds_write2_b32 v63, v14, v65 offset1:5
	ds_write_b32 v63, v39 offset:40
	;; [unrolled: 2-line block ×5, first 2 shown]
	s_waitcnt lgkmcnt(0)
	s_barrier
	buffer_gl0_inv
	s_clause 0x4
	global_load_dwordx2 v[12:13], v[11:12], off offset:40
	global_load_dwordx2 v[20:21], v5, s[10:11] offset:40
	global_load_dwordx2 v[16:17], v[9:10], off offset:40
	global_load_dwordx2 v[14:15], v3, s[10:11] offset:40
	global_load_dwordx2 v[18:19], v5, s[10:11] offset:64
	ds_read2_b32 v[9:10], v47 offset0:72 offset1:81
	ds_read_b32 v11, v47 offset:504
	ds_read2_b32 v[38:39], v47 offset0:36 offset1:45
	ds_read2_b32 v[64:65], v47 offset0:90 offset1:99
	;; [unrolled: 1-line block ×3, first 2 shown]
	ds_read2_b32 v[68:69], v47 offset1:9
	v_mov_b32_e32 v3, 45
	v_and_b32_e32 v70, 0xff, v70
	v_lshl_add_u32 v58, v0, 2, v37
	s_load_dwordx2 s[0:1], s[4:5], 0x38
	s_mul_i32 s4, s29, 0xfffffe74
	v_mul_u32_u24_sdwa v3, v7, v3 dst_sel:DWORD dst_unused:UNUSED_PAD src0_sel:WORD_0 src1_sel:DWORD
	ds_read2_b32 v[6:7], v47 offset0:108 offset1:117
	v_lshl_add_u32 v0, v70, 2, v37
	v_add_nc_u32_sdwa v3, v3, v71 dst_sel:DWORD dst_unused:UNUSED_PAD src0_sel:DWORD src1_sel:BYTE_0
	ds_read2_b32 v[70:71], v47 offset0:18 offset1:27
	s_waitcnt vmcnt(0) lgkmcnt(0)
	s_barrier
	buffer_gl0_inv
	v_lshl_add_u32 v57, v3, 2, v37
	v_lshrrev_b32_e32 v3, 16, v10
	v_lshrrev_b32_e32 v37, 16, v11
	;; [unrolled: 1-line block ×13, first 2 shown]
	v_mul_f16_sdwa v85, v74, v21 dst_sel:DWORD dst_unused:UNUSED_PAD src0_sel:DWORD src1_sel:WORD_1
	v_mul_f16_sdwa v86, v75, v17 dst_sel:DWORD dst_unused:UNUSED_PAD src0_sel:DWORD src1_sel:WORD_1
	;; [unrolled: 1-line block ×8, first 2 shown]
	v_fma_f16 v64, v64, v21, -v85
	v_fma_f16 v65, v65, v17, -v86
	v_mul_f16_sdwa v85, v66, v16 dst_sel:DWORD dst_unused:UNUSED_PAD src0_sel:DWORD src1_sel:WORD_1
	v_mul_f16_sdwa v86, v80, v14 dst_sel:DWORD dst_unused:UNUSED_PAD src0_sel:DWORD src1_sel:WORD_1
	v_fma_f16 v66, v66, v16, -v89
	v_fma_f16 v89, v67, v18, -v90
	v_mul_f16_sdwa v90, v10, v12 dst_sel:DWORD dst_unused:UNUSED_PAD src0_sel:DWORD src1_sel:WORD_1
	v_mul_f16_sdwa v67, v67, v18 dst_sel:DWORD dst_unused:UNUSED_PAD src0_sel:DWORD src1_sel:WORD_1
	v_fma_f16 v10, v10, v12, -v83
	v_fma_f16 v83, v9, v14, -v86
	v_mul_f16_sdwa v86, v11, v13 dst_sel:DWORD dst_unused:UNUSED_PAD src0_sel:DWORD src1_sel:WORD_1
	v_fma_f16 v11, v11, v13, -v84
	v_mul_f16_sdwa v84, v39, v20 dst_sel:DWORD dst_unused:UNUSED_PAD src0_sel:DWORD src1_sel:WORD_1
	v_fmac_f16_e32 v90, v3, v12
	v_mul_f16_sdwa v3, v73, v20 dst_sel:DWORD dst_unused:UNUSED_PAD src0_sel:DWORD src1_sel:WORD_1
	v_mul_f16_sdwa v9, v9, v14 dst_sel:DWORD dst_unused:UNUSED_PAD src0_sel:DWORD src1_sel:WORD_1
	v_fmac_f16_e32 v86, v37, v13
	v_mul_f16_sdwa v37, v81, v19 dst_sel:DWORD dst_unused:UNUSED_PAD src0_sel:DWORD src1_sel:WORD_1
	v_fmac_f16_e32 v84, v73, v20
	;; [unrolled: 2-line block ×4, first 2 shown]
	v_fma_f16 v3, v39, v20, -v3
	v_fmac_f16_e32 v85, v76, v16
	v_fmac_f16_e32 v67, v79, v18
	v_add_f16_e32 v79, v66, v65
	v_mul_f16_sdwa v75, v7, v15 dst_sel:DWORD dst_unused:UNUSED_PAD src0_sel:DWORD src1_sel:WORD_1
	v_fma_f16 v6, v6, v19, -v37
	v_fma_f16 v7, v7, v15, -v73
	v_fmac_f16_e32 v74, v81, v19
	v_fmac_f16_e32 v9, v80, v14
	v_add_f16_e32 v37, v10, v11
	v_add_f16_e32 v39, v90, v86
	;; [unrolled: 1-line block ×4, first 2 shown]
	v_fmac_f16_e32 v69, -0.5, v79
	v_add_f16_e32 v79, v68, v3
	v_fmac_f16_e32 v75, v82, v15
	v_add_f16_e32 v73, v38, v10
	v_add_f16_e32 v76, v72, v90
	v_fmac_f16_e32 v38, -0.5, v37
	v_add_f16_e32 v37, v77, v85
	v_fmac_f16_e32 v72, -0.5, v39
	;; [unrolled: 2-line block ×3, first 2 shown]
	v_add_f16_e32 v81, v84, v87
	v_sub_f16_e32 v82, v84, v87
	v_add_f16_e32 v84, v3, v64
	v_sub_f16_e32 v3, v3, v64
	v_add_f16_e32 v64, v79, v64
	v_add_f16_e32 v79, v83, v7
	v_add_f16_e32 v39, v39, v87
	v_fmac_f16_e32 v78, -0.5, v81
	v_lshrrev_b32_e32 v81, 16, v71
	v_add_f16_e32 v87, v71, v83
	v_fmac_f16_e32 v71, -0.5, v79
	v_add_f16_e32 v79, v9, v75
	v_sub_f16_e32 v66, v66, v65
	v_add_f16_e32 v65, v80, v65
	v_lshrrev_b32_e32 v80, 16, v70
	v_add_f16_e32 v91, v81, v9
	v_fmac_f16_e32 v81, -0.5, v79
	v_sub_f16_e32 v79, v85, v88
	v_add_f16_e32 v37, v37, v88
	v_add_f16_e32 v85, v80, v67
	;; [unrolled: 1-line block ×3, first 2 shown]
	v_sub_f16_e32 v67, v67, v74
	v_add_f16_e32 v92, v89, v6
	v_sub_f16_e32 v10, v10, v11
	v_add_f16_e32 v74, v85, v74
	v_add_f16_e32 v85, v70, v89
	v_fma_f16 v68, -0.5, v84, v68
	v_sub_f16_e32 v89, v89, v6
	v_fmac_f16_e32 v80, -0.5, v88
	v_sub_f16_e32 v83, v83, v7
	v_add_f16_e32 v6, v85, v6
	v_sub_f16_e32 v85, v90, v86
	v_sub_f16_e32 v9, v9, v75
	v_fma_f16 v70, -0.5, v92, v70
	v_fmamk_f16 v84, v10, 0xbaee, v72
	v_fmac_f16_e32 v72, 0x3aee, v10
	v_fmamk_f16 v10, v79, 0x3aee, v69
	v_fmac_f16_e32 v69, 0xbaee, v79
	;; [unrolled: 2-line block ×3, first 2 shown]
	v_pack_b32_f16 v39, v64, v39
	v_fmamk_f16 v64, v82, 0x3aee, v68
	v_fmamk_f16 v66, v3, 0xbaee, v78
	v_fmac_f16_e32 v68, 0xbaee, v82
	v_fmac_f16_e32 v78, 0x3aee, v3
	v_add_f16_e32 v11, v73, v11
	v_add_f16_e32 v73, v76, v86
	v_fmamk_f16 v76, v85, 0x3aee, v38
	v_fmac_f16_e32 v38, 0xbaee, v85
	v_fmamk_f16 v85, v9, 0x3aee, v71
	v_fmac_f16_e32 v71, 0xbaee, v9
	v_fmamk_f16 v9, v83, 0xbaee, v81
	v_pack_b32_f16 v3, v65, v37
	v_fmamk_f16 v37, v67, 0x3aee, v70
	v_fmamk_f16 v65, v89, 0xbaee, v80
	v_add_f16_e32 v7, v87, v7
	v_add_f16_e32 v75, v91, v75
	v_fmac_f16_e32 v81, 0x3aee, v83
	v_fmac_f16_e32 v70, 0xbaee, v67
	;; [unrolled: 1-line block ×3, first 2 shown]
	v_pack_b32_f16 v64, v64, v66
	v_pack_b32_f16 v68, v68, v78
	;; [unrolled: 1-line block ×13, first 2 shown]
	ds_write2_b32 v47, v39, v64 offset1:15
	ds_write_b32 v47, v68 offset:120
	ds_write2_b32 v58, v3, v10 offset1:15
	ds_write_b32 v58, v67 offset:120
	ds_write2_b32 v47, v6, v37 offset0:48 offset1:63
	ds_write_b32 v47, v65 offset:312
	ds_write2_b32 v57, v7, v9 offset1:15
	ds_write_b32 v57, v66 offset:120
	ds_write2_b32 v0, v11, v69 offset0:90 offset1:105
	ds_write_b32 v0, v38 offset:480
	v_lshlrev_b32_e32 v9, 3, v4
	s_waitcnt lgkmcnt(0)
	s_barrier
	buffer_gl0_inv
	s_clause 0x4
	global_load_dwordx2 v[2:3], v2, s[10:11] offset:160
	global_load_dwordx2 v[6:7], v5, s[10:11] offset:160
	;; [unrolled: 1-line block ×5, first 2 shown]
	ds_read_b32 v70, v47 offset:504
	ds_read2_b32 v[36:37], v47 offset0:72 offset1:81
	ds_read2_b32 v[38:39], v47 offset0:90 offset1:99
	;; [unrolled: 1-line block ×5, first 2 shown]
	s_waitcnt lgkmcnt(5)
	v_lshrrev_b32_e32 v71, 16, v70
	s_waitcnt lgkmcnt(4)
	v_lshrrev_b32_e32 v72, 16, v37
	;; [unrolled: 2-line block ×3, first 2 shown]
	v_lshrrev_b32_e32 v74, 16, v39
	v_lshrrev_b32_e32 v77, 16, v36
	s_waitcnt lgkmcnt(2)
	v_lshrrev_b32_e32 v75, 16, v64
	v_lshrrev_b32_e32 v76, 16, v65
	s_waitcnt lgkmcnt(1)
	v_lshrrev_b32_e32 v78, 16, v66
	v_lshrrev_b32_e32 v79, 16, v67
	s_waitcnt vmcnt(3)
	v_mul_f16_sdwa v83, v73, v7 dst_sel:DWORD dst_unused:UNUSED_PAD src0_sel:DWORD src1_sel:WORD_1
	v_mul_f16_sdwa v80, v71, v3 dst_sel:DWORD dst_unused:UNUSED_PAD src0_sel:DWORD src1_sel:WORD_1
	;; [unrolled: 1-line block ×3, first 2 shown]
	s_waitcnt vmcnt(2)
	v_mul_f16_sdwa v84, v74, v5 dst_sel:DWORD dst_unused:UNUSED_PAD src0_sel:DWORD src1_sel:WORD_1
	v_mul_f16_sdwa v85, v38, v7 dst_sel:DWORD dst_unused:UNUSED_PAD src0_sel:DWORD src1_sel:WORD_1
	v_fma_f16 v38, v38, v7, -v83
	s_waitcnt vmcnt(0)
	v_mul_f16_sdwa v83, v77, v8 dst_sel:DWORD dst_unused:UNUSED_PAD src0_sel:DWORD src1_sel:WORD_1
	v_mul_f16_sdwa v82, v37, v2 dst_sel:DWORD dst_unused:UNUSED_PAD src0_sel:DWORD src1_sel:WORD_1
	;; [unrolled: 1-line block ×3, first 2 shown]
	v_fma_f16 v39, v39, v5, -v84
	v_mul_f16_sdwa v84, v36, v8 dst_sel:DWORD dst_unused:UNUSED_PAD src0_sel:DWORD src1_sel:WORD_1
	v_fma_f16 v81, v37, v2, -v81
	v_fma_f16 v83, v36, v8, -v83
	ds_read2_b32 v[36:37], v47 offset1:9
	v_fma_f16 v80, v70, v3, -v80
	v_mul_f16_sdwa v70, v70, v3 dst_sel:DWORD dst_unused:UNUSED_PAD src0_sel:DWORD src1_sel:WORD_1
	v_fmac_f16_e32 v82, v72, v2
	s_waitcnt lgkmcnt(1)
	v_mul_f16_sdwa v72, v69, v6 dst_sel:DWORD dst_unused:UNUSED_PAD src0_sel:DWORD src1_sel:WORD_1
	v_mul_f16_sdwa v87, v64, v4 dst_sel:DWORD dst_unused:UNUSED_PAD src0_sel:DWORD src1_sel:WORD_1
	;; [unrolled: 1-line block ×3, first 2 shown]
	v_fmac_f16_e32 v70, v71, v3
	v_lshrrev_b32_e32 v71, 16, v69
	v_mul_f16_sdwa v90, v65, v10 dst_sel:DWORD dst_unused:UNUSED_PAD src0_sel:DWORD src1_sel:WORD_1
	v_mul_f16_sdwa v91, v66, v11 dst_sel:DWORD dst_unused:UNUSED_PAD src0_sel:DWORD src1_sel:WORD_1
	v_fma_f16 v64, v64, v4, -v88
	v_fmac_f16_e32 v86, v74, v5
	v_fmac_f16_e32 v72, v71, v6
	v_mul_f16_sdwa v71, v71, v6 dst_sel:DWORD dst_unused:UNUSED_PAD src0_sel:DWORD src1_sel:WORD_1
	v_fmac_f16_e32 v87, v75, v4
	v_mul_f16_sdwa v89, v76, v10 dst_sel:DWORD dst_unused:UNUSED_PAD src0_sel:DWORD src1_sel:WORD_1
	v_mul_f16_sdwa v88, v78, v11 dst_sel:DWORD dst_unused:UNUSED_PAD src0_sel:DWORD src1_sel:WORD_1
	v_fmac_f16_e32 v85, v73, v7
	v_fma_f16 v69, v69, v6, -v71
	v_add_f16_e32 v71, v81, v80
	v_lshrrev_b32_e32 v73, 16, v68
	s_waitcnt lgkmcnt(0)
	v_lshrrev_b32_e32 v74, 16, v37
	v_fmac_f16_e32 v90, v76, v10
	v_fmac_f16_e32 v91, v78, v11
	v_add_f16_e32 v75, v68, v81
	v_add_f16_e32 v76, v82, v70
	;; [unrolled: 1-line block ×3, first 2 shown]
	v_fmac_f16_e32 v68, -0.5, v71
	v_add_f16_e32 v71, v87, v86
	v_mul_f16_sdwa v92, v67, v9 dst_sel:DWORD dst_unused:UNUSED_PAD src0_sel:DWORD src1_sel:WORD_1
	v_fmac_f16_e32 v84, v77, v8
	v_add_f16_e32 v77, v73, v82
	v_fmac_f16_e32 v73, -0.5, v76
	v_add_f16_e32 v76, v37, v64
	v_fmac_f16_e32 v37, -0.5, v78
	;; [unrolled: 2-line block ×3, first 2 shown]
	v_add_f16_e32 v71, v36, v69
	v_fma_f16 v65, v65, v10, -v89
	v_mul_f16_sdwa v89, v79, v9 dst_sel:DWORD dst_unused:UNUSED_PAD src0_sel:DWORD src1_sel:WORD_1
	v_fma_f16 v66, v66, v11, -v88
	v_fmac_f16_e32 v92, v79, v9
	v_add_f16_e32 v79, v69, v38
	v_sub_f16_e32 v69, v69, v38
	v_add_f16_e32 v71, v71, v38
	v_lshrrev_b32_e32 v88, 16, v36
	v_add_f16_e32 v38, v72, v85
	v_fma_f16 v67, v67, v9, -v89
	v_sub_f16_e32 v64, v64, v39
	v_add_f16_e32 v76, v76, v39
	v_add_f16_e32 v89, v88, v72
	v_fmac_f16_e32 v88, -0.5, v38
	ds_read2_b32 v[38:39], v47 offset0:18 offset1:27
	v_sub_f16_e32 v87, v87, v86
	v_add_f16_e32 v78, v78, v86
	v_add_f16_e32 v86, v83, v67
	v_sub_f16_e32 v72, v72, v85
	v_add_f16_e32 v85, v89, v85
	v_add_f16_e32 v95, v90, v91
	;; [unrolled: 1-line block ×3, first 2 shown]
	v_fma_f16 v36, -0.5, v79, v36
	v_sub_f16_e32 v81, v81, v80
	v_add_f16_e32 v75, v75, v80
	v_sub_f16_e32 v80, v82, v70
	v_fmamk_f16 v82, v64, 0xbaee, v74
	v_fmac_f16_e32 v74, 0x3aee, v64
	v_fmamk_f16 v64, v72, 0x3aee, v36
	v_fmac_f16_e32 v36, 0xbaee, v72
	;; [unrolled: 2-line block ×3, first 2 shown]
	v_add_f16_e32 v70, v77, v70
	v_fmamk_f16 v77, v80, 0x3aee, v68
	s_waitcnt lgkmcnt(0)
	v_lshrrev_b32_e32 v89, 16, v39
	v_add_f16_e32 v93, v39, v83
	v_fmac_f16_e32 v39, -0.5, v86
	v_add_f16_e32 v86, v84, v92
	v_sub_f16_e32 v83, v83, v67
	v_add_f16_e32 v94, v89, v84
	v_sub_f16_e32 v84, v84, v92
	v_fmac_f16_e32 v68, 0xbaee, v80
	v_fmac_f16_e32 v89, -0.5, v86
	v_lshrrev_b32_e32 v86, 16, v38
	v_fmamk_f16 v80, v81, 0xbaee, v73
	v_fmac_f16_e32 v73, 0x3aee, v81
	v_fmamk_f16 v81, v87, 0x3aee, v37
	v_fmac_f16_e32 v37, 0xbaee, v87
	v_add_f16_e32 v96, v86, v90
	v_fmac_f16_e32 v86, -0.5, v95
	v_add_f16_e32 v95, v38, v65
	v_sub_f16_e32 v65, v65, v66
	v_sub_f16_e32 v90, v90, v91
	v_fma_f16 v38, -0.5, v97, v38
	v_add_f16_e32 v91, v96, v91
	v_add_f16_e32 v66, v95, v66
	;; [unrolled: 1-line block ×4, first 2 shown]
	v_pack_b32_f16 v69, v71, v85
	v_pack_b32_f16 v71, v76, v78
	v_fmamk_f16 v76, v84, 0x3aee, v39
	v_fmamk_f16 v78, v83, 0xbaee, v89
	v_fmac_f16_e32 v89, 0x3aee, v83
	v_fmamk_f16 v79, v90, 0x3aee, v38
	v_fmamk_f16 v83, v65, 0xbaee, v86
	v_fmac_f16_e32 v39, 0xbaee, v84
	v_fmac_f16_e32 v38, 0xbaee, v90
	;; [unrolled: 1-line block ×3, first 2 shown]
	v_pack_b32_f16 v64, v64, v72
	v_pack_b32_f16 v36, v36, v88
	;; [unrolled: 1-line block ×13, first 2 shown]
	ds_write_b32 v47, v64 offset:180
	ds_write_b32 v47, v36 offset:360
	ds_write2_b32 v47, v69, v71 offset1:9
	ds_write_b32 v47, v37 offset:396
	ds_write2_b32 v47, v70, v72 offset0:54 offset1:63
	ds_write2_b32 v47, v65, v66 offset0:18 offset1:27
	;; [unrolled: 1-line block ×4, first 2 shown]
	ds_write_b32 v47, v67 offset:144
	ds_write_b32 v47, v68 offset:504
	s_waitcnt lgkmcnt(0)
	s_barrier
	buffer_gl0_inv
	s_clause 0xe
	global_load_dword v70, v32, s[8:9] offset:540
	global_load_dword v71, v32, s[6:7] offset:36
	;; [unrolled: 1-line block ×15, first 2 shown]
	ds_read2_b32 v[36:37], v47 offset1:9
	ds_read2_b32 v[38:39], v47 offset0:54 offset1:63
	ds_read2_b32 v[64:65], v47 offset0:108 offset1:117
	;; [unrolled: 1-line block ×4, first 2 shown]
	s_waitcnt lgkmcnt(4)
	v_lshrrev_b32_e32 v84, 16, v36
	v_lshrrev_b32_e32 v85, 16, v37
	s_waitcnt lgkmcnt(3)
	v_lshrrev_b32_e32 v87, 16, v38
	v_lshrrev_b32_e32 v89, 16, v39
	s_waitcnt vmcnt(14)
	v_mul_f16_sdwa v86, v36, v70 dst_sel:DWORD dst_unused:UNUSED_PAD src0_sel:DWORD src1_sel:WORD_1
	v_mul_f16_sdwa v88, v84, v70 dst_sel:DWORD dst_unused:UNUSED_PAD src0_sel:DWORD src1_sel:WORD_1
	s_waitcnt vmcnt(13)
	v_mul_f16_sdwa v90, v85, v71 dst_sel:DWORD dst_unused:UNUSED_PAD src0_sel:DWORD src1_sel:WORD_1
	s_waitcnt vmcnt(12)
	v_mul_f16_sdwa v91, v38, v72 dst_sel:DWORD dst_unused:UNUSED_PAD src0_sel:DWORD src1_sel:WORD_1
	v_fmac_f16_e32 v86, v84, v70
	v_mul_f16_sdwa v84, v37, v71 dst_sel:DWORD dst_unused:UNUSED_PAD src0_sel:DWORD src1_sel:WORD_1
	v_fma_f16 v70, v36, v70, -v88
	s_waitcnt lgkmcnt(2)
	v_lshrrev_b32_e32 v88, 16, v64
	v_mul_f16_sdwa v36, v87, v72 dst_sel:DWORD dst_unused:UNUSED_PAD src0_sel:DWORD src1_sel:WORD_1
	v_fma_f16 v90, v37, v71, -v90
	v_fmac_f16_e32 v84, v85, v71
	v_lshrrev_b32_e32 v71, 16, v65
	s_waitcnt vmcnt(11)
	v_mul_f16_sdwa v37, v89, v73 dst_sel:DWORD dst_unused:UNUSED_PAD src0_sel:DWORD src1_sel:WORD_1
	v_fmac_f16_e32 v91, v87, v72
	v_mul_f16_sdwa v85, v39, v73 dst_sel:DWORD dst_unused:UNUSED_PAD src0_sel:DWORD src1_sel:WORD_1
	v_fma_f16 v72, v38, v72, -v36
	s_waitcnt vmcnt(10)
	v_mul_f16_sdwa v38, v88, v74 dst_sel:DWORD dst_unused:UNUSED_PAD src0_sel:DWORD src1_sel:WORD_1
	v_mul_f16_sdwa v87, v64, v74 dst_sel:DWORD dst_unused:UNUSED_PAD src0_sel:DWORD src1_sel:WORD_1
	v_fma_f16 v92, v39, v73, -v37
	v_fmac_f16_e32 v85, v89, v73
	ds_read2_b32 v[36:37], v47 offset0:72 offset1:81
	s_waitcnt vmcnt(9)
	v_mul_f16_sdwa v39, v71, v75 dst_sel:DWORD dst_unused:UNUSED_PAD src0_sel:DWORD src1_sel:WORD_1
	v_mul_f16_sdwa v73, v65, v75 dst_sel:DWORD dst_unused:UNUSED_PAD src0_sel:DWORD src1_sel:WORD_1
	v_fma_f16 v64, v64, v74, -v38
	s_waitcnt lgkmcnt(2)
	v_lshrrev_b32_e32 v38, 16, v67
	v_fmac_f16_e32 v87, v88, v74
	v_fma_f16 v65, v65, v75, -v39
	v_lshrrev_b32_e32 v39, 16, v66
	s_waitcnt vmcnt(8)
	v_mul_f16_sdwa v74, v67, v76 dst_sel:DWORD dst_unused:UNUSED_PAD src0_sel:DWORD src1_sel:WORD_1
	v_fmac_f16_e32 v73, v71, v75
	v_mul_f16_sdwa v71, v38, v76 dst_sel:DWORD dst_unused:UNUSED_PAD src0_sel:DWORD src1_sel:WORD_1
	s_waitcnt vmcnt(4)
	v_mul_f16_sdwa v88, v66, v80 dst_sel:DWORD dst_unused:UNUSED_PAD src0_sel:DWORD src1_sel:WORD_1
	v_mul_f16_sdwa v75, v39, v80 dst_sel:DWORD dst_unused:UNUSED_PAD src0_sel:DWORD src1_sel:WORD_1
	v_fmac_f16_e32 v74, v38, v76
	s_waitcnt lgkmcnt(1)
	v_lshrrev_b32_e32 v38, 16, v68
	v_fma_f16 v67, v67, v76, -v71
	v_lshrrev_b32_e32 v71, 16, v69
	v_fma_f16 v66, v66, v80, -v75
	v_mul_f16_sdwa v75, v68, v77 dst_sel:DWORD dst_unused:UNUSED_PAD src0_sel:DWORD src1_sel:WORD_1
	v_fmac_f16_e32 v88, v39, v80
	v_mul_f16_sdwa v39, v38, v77 dst_sel:DWORD dst_unused:UNUSED_PAD src0_sel:DWORD src1_sel:WORD_1
	v_mul_f16_sdwa v76, v71, v79 dst_sel:DWORD dst_unused:UNUSED_PAD src0_sel:DWORD src1_sel:WORD_1
	;; [unrolled: 1-line block ×3, first 2 shown]
	v_fmac_f16_e32 v75, v38, v77
	v_pack_b32_f16 v72, v72, v91
	v_fma_f16 v68, v68, v77, -v39
	s_waitcnt lgkmcnt(0)
	v_lshrrev_b32_e32 v77, 16, v37
	v_fma_f16 v69, v69, v79, -v76
	s_waitcnt vmcnt(3)
	v_mul_f16_sdwa v76, v37, v81 dst_sel:DWORD dst_unused:UNUSED_PAD src0_sel:DWORD src1_sel:WORD_1
	ds_read2_b32 v[38:39], v47 offset0:90 offset1:99
	v_fmac_f16_e32 v80, v71, v79
	v_mul_f16_sdwa v71, v77, v81 dst_sel:DWORD dst_unused:UNUSED_PAD src0_sel:DWORD src1_sel:WORD_1
	v_pack_b32_f16 v64, v64, v87
	v_fmac_f16_e32 v76, v77, v81
	v_lshrrev_b32_e32 v77, 16, v36
	v_pack_b32_f16 v65, v65, v73
	v_fma_f16 v37, v37, v81, -v71
	ds_read_b32 v81, v47 offset:504
	v_pack_b32_f16 v67, v67, v74
	v_mul_f16_sdwa v71, v77, v78 dst_sel:DWORD dst_unused:UNUSED_PAD src0_sel:DWORD src1_sel:WORD_1
	v_pack_b32_f16 v66, v66, v88
	v_pack_b32_f16 v68, v68, v75
	;; [unrolled: 1-line block ×4, first 2 shown]
	v_fma_f16 v71, v36, v78, -v71
	v_mul_f16_sdwa v36, v36, v78 dst_sel:DWORD dst_unused:UNUSED_PAD src0_sel:DWORD src1_sel:WORD_1
	s_waitcnt lgkmcnt(1)
	v_lshrrev_b32_e32 v79, 16, v38
	v_fmac_f16_e32 v36, v77, v78
	s_waitcnt vmcnt(2)
	v_mul_f16_sdwa v77, v38, v82 dst_sel:DWORD dst_unused:UNUSED_PAD src0_sel:DWORD src1_sel:WORD_1
	v_mul_f16_sdwa v78, v79, v82 dst_sel:DWORD dst_unused:UNUSED_PAD src0_sel:DWORD src1_sel:WORD_1
	v_pack_b32_f16 v36, v71, v36
	v_fmac_f16_e32 v77, v79, v82
	v_lshrrev_b32_e32 v79, 16, v39
	v_fma_f16 v38, v38, v82, -v78
	v_pack_b32_f16 v82, v92, v85
	s_waitcnt vmcnt(0)
	v_mul_f16_sdwa v78, v79, v32 dst_sel:DWORD dst_unused:UNUSED_PAD src0_sel:DWORD src1_sel:WORD_1
	v_pack_b32_f16 v38, v38, v77
	v_fma_f16 v78, v39, v32, -v78
	v_mul_f16_sdwa v39, v39, v32 dst_sel:DWORD dst_unused:UNUSED_PAD src0_sel:DWORD src1_sel:WORD_1
	v_fmac_f16_e32 v39, v79, v32
	s_waitcnt lgkmcnt(0)
	v_lshrrev_b32_e32 v32, 16, v81
	v_pack_b32_f16 v39, v78, v39
	v_mul_f16_sdwa v79, v32, v83 dst_sel:DWORD dst_unused:UNUSED_PAD src0_sel:DWORD src1_sel:WORD_1
	v_fma_f16 v79, v81, v83, -v79
	v_mul_f16_sdwa v81, v81, v83 dst_sel:DWORD dst_unused:UNUSED_PAD src0_sel:DWORD src1_sel:WORD_1
	v_fmac_f16_e32 v81, v32, v83
	v_pack_b32_f16 v32, v70, v86
	v_pack_b32_f16 v70, v90, v84
	;; [unrolled: 1-line block ×3, first 2 shown]
	ds_write2_b32 v47, v32, v70 offset1:9
	ds_write2_b32 v47, v72, v82 offset0:54 offset1:63
	ds_write2_b32 v47, v64, v65 offset0:108 offset1:117
	;; [unrolled: 1-line block ×6, first 2 shown]
	ds_write_b32 v47, v71 offset:504
	s_waitcnt lgkmcnt(0)
	s_barrier
	buffer_gl0_inv
	ds_read2_b32 v[36:37], v47 offset0:54 offset1:63
	ds_read2_b32 v[38:39], v47 offset0:18 offset1:27
	;; [unrolled: 1-line block ×4, first 2 shown]
	ds_read2_b32 v[68:69], v47 offset1:9
	ds_read2_b32 v[70:71], v47 offset0:90 offset1:99
	ds_read2_b32 v[72:73], v47 offset0:36 offset1:45
	ds_read_b32 v32, v47 offset:504
	s_waitcnt lgkmcnt(0)
	s_barrier
	buffer_gl0_inv
	v_pk_add_f16 v74, v39, v36 neg_lo:[0,1] neg_hi:[0,1]
	v_pk_add_f16 v80, v39, v64
	v_pk_add_f16 v76, v36, v67
	;; [unrolled: 1-line block ×5, first 2 shown]
	v_pk_add_f16 v75, v64, v67 neg_lo:[0,1] neg_hi:[0,1]
	v_pk_add_f16 v84, v69, v72
	v_pk_add_f16 v88, v66, v71
	v_pk_add_f16 v77, v39, v64 neg_lo:[0,1] neg_hi:[0,1]
	v_pk_add_f16 v78, v36, v67 neg_lo:[0,1] neg_hi:[0,1]
	;; [unrolled: 1-line block ×6, first 2 shown]
	v_pk_add_f16 v89, v73, v32
	v_pk_fma_f16 v76, v76, 0.5, v68 op_sel_hi:[1,0,1] neg_lo:[1,0,0] neg_hi:[1,0,0]
	v_pk_fma_f16 v68, v80, 0.5, v68 op_sel_hi:[1,0,1] neg_lo:[1,0,0] neg_hi:[1,0,0]
	;; [unrolled: 1-line block ×4, first 2 shown]
	v_pk_add_f16 v83, v65, v70 neg_lo:[0,1] neg_hi:[0,1]
	v_pk_add_f16 v36, v79, v36
	v_pk_add_f16 v79, v70, v65 neg_lo:[0,1] neg_hi:[0,1]
	v_pk_add_f16 v86, v37, v70 neg_lo:[0,1] neg_hi:[0,1]
	v_pk_add_f16 v82, v38, v73
	v_pk_add_f16 v37, v84, v37
	v_pk_add_f16 v72, v72, v65 neg_lo:[0,1] neg_hi:[0,1]
	v_pk_fma_f16 v84, v88, 0.5, v38 op_sel_hi:[1,0,1] neg_lo:[1,0,0] neg_hi:[1,0,0]
	v_pk_add_f16 v88, v73, v66 neg_lo:[0,1] neg_hi:[0,1]
	v_pk_add_f16 v74, v74, v75
	v_pk_add_f16 v75, v32, v71 neg_lo:[0,1] neg_hi:[0,1]
	v_pk_fma_f16 v38, v89, 0.5, v38 op_sel_hi:[1,0,1] neg_lo:[1,0,0] neg_hi:[1,0,0]
	v_pk_add_f16 v89, v66, v73 neg_lo:[0,1] neg_hi:[0,1]
	v_pk_add_f16 v73, v73, v32 neg_lo:[0,1] neg_hi:[0,1]
	;; [unrolled: 1-line block ×3, first 2 shown]
	v_pk_add_f16 v39, v39, v81
	v_pk_add_f16 v81, v71, v32 neg_lo:[0,1] neg_hi:[0,1]
	v_pk_add_f16 v83, v85, v83
	v_pk_mul_f16 v85, 0x3b9c, v77 op_sel_hi:[0,1]
	v_pk_add_f16 v79, v87, v79
	v_pk_mul_f16 v87, 0x38b4, v78 op_sel_hi:[0,1]
	v_pk_mul_f16 v78, 0x3b9c, v78 op_sel_hi:[0,1]
	v_pk_add_f16 v66, v82, v66
	v_pk_add_f16 v75, v88, v75
	v_pk_mul_f16 v82, 0x3b9c, v72 op_sel_hi:[0,1]
	v_pk_mul_f16 v88, 0x3b9c, v86 op_sel_hi:[0,1]
	v_pk_add_f16 v81, v89, v81
	v_pk_add_f16 v36, v36, v67
	v_pk_mul_f16 v67, 0x3b9c, v73 op_sel_hi:[0,1]
	v_pk_add_f16 v89, v76, v85 op_sel:[0,1] op_sel_hi:[1,0] neg_lo:[0,1] neg_hi:[0,1]
	v_pk_add_f16 v76, v76, v85 op_sel:[0,1] op_sel_hi:[1,0]
	v_pk_add_f16 v85, v68, v78 op_sel:[0,1] op_sel_hi:[1,0]
	v_pk_add_f16 v68, v68, v78 op_sel:[0,1] op_sel_hi:[1,0] neg_lo:[0,1] neg_hi:[0,1]
	v_pk_mul_f16 v78, 0x3b9c, v90 op_sel_hi:[0,1]
	v_pk_mul_f16 v77, 0x38b4, v77 op_sel_hi:[0,1]
	;; [unrolled: 1-line block ×4, first 2 shown]
	v_pk_add_f16 v37, v37, v70
	v_pk_add_f16 v66, v66, v71
	v_pk_add_f16 v70, v80, v82 op_sel:[0,1] op_sel_hi:[1,0] neg_lo:[0,1] neg_hi:[0,1]
	v_pk_add_f16 v71, v80, v82 op_sel:[0,1] op_sel_hi:[1,0]
	v_pk_add_f16 v80, v69, v88 op_sel:[0,1] op_sel_hi:[1,0]
	v_pk_add_f16 v69, v69, v88 op_sel:[0,1] op_sel_hi:[1,0] neg_lo:[0,1] neg_hi:[0,1]
	v_pk_mul_f16 v73, 0x38b4, v73 op_sel_hi:[0,1]
	v_pk_add_f16 v82, v84, v67 op_sel:[0,1] op_sel_hi:[1,0] neg_lo:[0,1] neg_hi:[0,1]
	v_pk_add_f16 v67, v84, v67 op_sel:[0,1] op_sel_hi:[1,0]
	v_pk_add_f16 v84, v38, v78 op_sel:[0,1] op_sel_hi:[1,0]
	v_pk_add_f16 v38, v38, v78 op_sel:[0,1] op_sel_hi:[1,0] neg_lo:[0,1] neg_hi:[0,1]
	v_pk_mul_f16 v90, 0x38b4, v90 op_sel_hi:[0,1]
	v_pk_add_f16 v78, v89, v87 op_sel:[0,1] op_sel_hi:[1,0] neg_lo:[0,1] neg_hi:[0,1]
	v_pk_add_f16 v76, v76, v87 op_sel:[0,1] op_sel_hi:[1,0]
	v_pk_add_f16 v36, v36, v64
	v_pk_add_f16 v64, v85, v77 op_sel:[0,1] op_sel_hi:[1,0] neg_lo:[0,1] neg_hi:[0,1]
	v_pk_add_f16 v68, v68, v77 op_sel:[0,1] op_sel_hi:[1,0]
	v_pk_add_f16 v37, v37, v65
	v_pk_add_f16 v65, v70, v86 op_sel:[0,1] op_sel_hi:[1,0] neg_lo:[0,1] neg_hi:[0,1]
	v_pk_add_f16 v70, v71, v86 op_sel:[0,1] op_sel_hi:[1,0]
	v_pk_add_f16 v71, v80, v72 op_sel:[0,1] op_sel_hi:[1,0] neg_lo:[0,1] neg_hi:[0,1]
	v_pk_add_f16 v69, v69, v72 op_sel:[0,1] op_sel_hi:[1,0]
	v_pk_add_f16 v32, v66, v32
	v_pk_add_f16 v66, v84, v73 op_sel:[0,1] op_sel_hi:[1,0] neg_lo:[0,1] neg_hi:[0,1]
	v_pk_add_f16 v38, v38, v73 op_sel:[0,1] op_sel_hi:[1,0]
	v_pk_add_f16 v72, v82, v90 op_sel:[0,1] op_sel_hi:[1,0] neg_lo:[0,1] neg_hi:[0,1]
	v_pk_add_f16 v67, v67, v90 op_sel:[0,1] op_sel_hi:[1,0]
	v_bfi_b32 v73, 0xffff, v78, v76
	v_bfi_b32 v77, 0xffff, v64, v68
	;; [unrolled: 1-line block ×12, first 2 shown]
	v_pk_fma_f16 v72, 0x34f2, v74, v73 op_sel_hi:[0,1,1]
	v_pk_fma_f16 v73, 0x34f2, v39, v77 op_sel_hi:[0,1,1]
	;; [unrolled: 1-line block ×12, first 2 shown]
	ds_write2_b32 v33, v36, v72 offset1:1
	ds_write2_b32 v33, v73, v39 offset0:2 offset1:3
	ds_write_b32 v33, v64 offset:16
	ds_write2_b32 v35, v37, v71 offset1:1
	ds_write2_b32 v35, v68, v69 offset0:2 offset1:3
	ds_write_b32 v35, v65 offset:16
	;; [unrolled: 3-line block ×3, first 2 shown]
	s_waitcnt lgkmcnt(0)
	s_barrier
	buffer_gl0_inv
	ds_read_b32 v64, v47 offset:504
	ds_read2_b32 v[36:37], v47 offset0:72 offset1:81
	ds_read2_b32 v[34:35], v47 offset0:108 offset1:117
	;; [unrolled: 1-line block ×5, first 2 shown]
	ds_read2_b32 v[69:70], v47 offset1:9
	ds_read2_b32 v[71:72], v47 offset0:18 offset1:27
	s_waitcnt lgkmcnt(0)
	s_barrier
	buffer_gl0_inv
	v_mad_u64_u32 v[32:33], null, s30, v1, 0
	s_mul_i32 s30, s28, 0x6c
	v_lshrrev_b32_e32 v73, 16, v64
	v_mul_f16_sdwa v74, v31, v64 dst_sel:DWORD dst_unused:UNUSED_PAD src0_sel:WORD_1 src1_sel:DWORD
	v_lshrrev_b32_e32 v75, 16, v37
	v_mul_f16_sdwa v76, v30, v37 dst_sel:DWORD dst_unused:UNUSED_PAD src0_sel:WORD_1 src1_sel:DWORD
	;; [unrolled: 2-line block ×3, first 2 shown]
	v_fma_f16 v73, v31, v73, -v74
	v_mul_f16_sdwa v74, v30, v75 dst_sel:DWORD dst_unused:UNUSED_PAD src0_sel:WORD_1 src1_sel:DWORD
	v_lshrrev_b32_e32 v79, 16, v35
	v_mul_f16_sdwa v78, v28, v36 dst_sel:DWORD dst_unused:UNUSED_PAD src0_sel:WORD_1 src1_sel:DWORD
	v_mul_f16_sdwa v80, v29, v35 dst_sel:DWORD dst_unused:UNUSED_PAD src0_sel:WORD_1 src1_sel:DWORD
	v_lshrrev_b32_e32 v81, 16, v34
	v_mul_f16_sdwa v82, v27, v34 dst_sel:DWORD dst_unused:UNUSED_PAD src0_sel:WORD_1 src1_sel:DWORD
	v_lshrrev_b32_e32 v83, 16, v39
	;; [unrolled: 2-line block ×5, first 2 shown]
	v_fma_f16 v75, v30, v75, -v76
	v_mul_f16_sdwa v76, v28, v77 dst_sel:DWORD dst_unused:UNUSED_PAD src0_sel:WORD_1 src1_sel:DWORD
	v_fmac_f16_e32 v90, v31, v64
	v_mul_f16_sdwa v31, v23, v65 dst_sel:DWORD dst_unused:UNUSED_PAD src0_sel:WORD_1 src1_sel:DWORD
	v_fmac_f16_e32 v74, v30, v37
	v_lshrrev_b32_e32 v30, 16, v68
	v_mul_f16_sdwa v37, v22, v68 dst_sel:DWORD dst_unused:UNUSED_PAD src0_sel:WORD_1 src1_sel:DWORD
	v_mul_f16_sdwa v64, v29, v79 dst_sel:DWORD dst_unused:UNUSED_PAD src0_sel:WORD_1 src1_sel:DWORD
	v_fmac_f16_e32 v76, v28, v36
	v_fma_f16 v28, v28, v77, -v78
	v_fma_f16 v78, v29, v79, -v80
	v_lshrrev_b32_e32 v79, 16, v69
	v_fma_f16 v80, v27, v81, -v82
	v_mul_f16_sdwa v81, v27, v81 dst_sel:DWORD dst_unused:UNUSED_PAD src0_sel:WORD_1 src1_sel:DWORD
	v_fma_f16 v82, v26, v83, -v84
	v_mul_f16_sdwa v83, v26, v83 dst_sel:DWORD dst_unused:UNUSED_PAD src0_sel:WORD_1 src1_sel:DWORD
	;; [unrolled: 2-line block ×6, first 2 shown]
	v_fmac_f16_e32 v64, v29, v35
	v_lshrrev_b32_e32 v35, 16, v71
	v_lshrrev_b32_e32 v36, 16, v67
	v_lshrrev_b32_e32 v77, 16, v70
	v_lshrrev_b32_e32 v29, 16, v72
	v_fmac_f16_e32 v81, v27, v34
	v_fmac_f16_e32 v83, v26, v39
	;; [unrolled: 1-line block ×6, first 2 shown]
	v_add_f16_e32 v22, v75, v73
	v_add_f16_e32 v25, v84, v86
	;; [unrolled: 1-line block ×8, first 2 shown]
	v_sub_f16_e32 v37, v37, v31
	v_add_f16_e32 v65, v29, v28
	v_fmac_f16_e32 v36, -0.5, v22
	v_add_f16_e32 v22, v74, v90
	v_fmac_f16_e32 v77, -0.5, v25
	v_add_f16_e32 v25, v85, v87
	v_fmac_f16_e32 v79, -0.5, v34
	v_add_f16_e32 v34, v30, v88
	v_add_f16_e32 v31, v38, v31
	;; [unrolled: 1-line block ×3, first 2 shown]
	v_fmac_f16_e32 v29, -0.5, v39
	v_add_f16_e32 v39, v76, v64
	v_sub_f16_e32 v24, v75, v73
	v_add_f16_e32 v68, v82, v80
	v_sub_f16_e32 v75, v82, v80
	v_add_f16_e32 v66, v66, v80
	v_add_f16_e32 v80, v83, v81
	v_sub_f16_e32 v27, v84, v86
	v_sub_f16_e32 v28, v28, v78
	v_add_f16_e32 v82, v67, v74
	v_add_f16_e32 v84, v70, v85
	;; [unrolled: 1-line block ×4, first 2 shown]
	v_sub_f16_e32 v76, v76, v64
	v_sub_f16_e32 v30, v30, v88
	v_fmac_f16_e32 v67, -0.5, v22
	v_fmac_f16_e32 v70, -0.5, v25
	v_fma_f16 v34, -0.5, v34, v69
	v_fmac_f16_e32 v72, -0.5, v39
	v_add_f16_e32 v38, v38, v88
	v_sub_f16_e32 v85, v85, v87
	v_sub_f16_e32 v74, v74, v90
	v_fmac_f16_e32 v35, -0.5, v68
	v_add_f16_e32 v68, v71, v83
	v_add_f16_e32 v23, v23, v73
	v_sub_f16_e32 v73, v83, v81
	v_fma_f16 v69, -0.5, v80, v71
	v_fmamk_f16 v39, v76, 0x3aee, v29
	v_fmac_f16_e32 v29, 0xbaee, v76
	v_fmamk_f16 v71, v30, 0x3aee, v79
	v_fmamk_f16 v76, v24, 0xbaee, v67
	v_fmac_f16_e32 v67, 0x3aee, v24
	v_fmamk_f16 v24, v27, 0xbaee, v70
	v_fmac_f16_e32 v70, 0x3aee, v27
	v_fmamk_f16 v27, v28, 0xbaee, v72
	v_fmac_f16_e32 v72, 0x3aee, v28
	v_pack_b32_f16 v28, v38, v31
	v_fmamk_f16 v31, v37, 0xbaee, v34
	v_fmac_f16_e32 v79, 0xbaee, v30
	v_fmac_f16_e32 v34, 0x3aee, v37
	v_fmamk_f16 v25, v85, 0x3aee, v77
	v_add_f16_e32 v30, v84, v87
	v_add_f16_e32 v65, v65, v78
	v_fmac_f16_e32 v77, 0xbaee, v85
	v_add_f16_e32 v64, v86, v64
	v_fmamk_f16 v22, v74, 0x3aee, v36
	v_fmac_f16_e32 v36, 0xbaee, v74
	v_add_f16_e32 v68, v68, v81
	v_fmamk_f16 v74, v73, 0x3aee, v35
	v_fmamk_f16 v37, v75, 0xbaee, v69
	v_fmac_f16_e32 v35, 0xbaee, v73
	v_add_f16_e32 v73, v82, v90
	v_fmac_f16_e32 v69, 0x3aee, v75
	v_pack_b32_f16 v31, v31, v71
	v_pack_b32_f16 v34, v34, v79
	;; [unrolled: 1-line block ×14, first 2 shown]
	ds_write2_b32 v59, v28, v31 offset1:5
	ds_write_b32 v59, v34 offset:40
	ds_write2_b32 v63, v26, v24 offset1:5
	ds_write_b32 v63, v64 offset:40
	;; [unrolled: 2-line block ×5, first 2 shown]
	s_waitcnt lgkmcnt(0)
	s_barrier
	buffer_gl0_inv
	ds_read2_b32 v[24:25], v47 offset0:36 offset1:45
	ds_read2_b32 v[28:29], v47 offset0:90 offset1:99
	;; [unrolled: 1-line block ×5, first 2 shown]
	ds_read_b32 v59, v47 offset:504
	ds_read2_b32 v[36:37], v47 offset1:9
	ds_read2_b32 v[38:39], v47 offset0:18 offset1:27
	s_waitcnt lgkmcnt(0)
	s_barrier
	buffer_gl0_inv
	v_mad_u64_u32 v[22:23], null, s28, v56, 0
	v_lshrrev_b32_e32 v60, 16, v25
	v_lshrrev_b32_e32 v61, 16, v28
	v_mul_f16_sdwa v62, v20, v25 dst_sel:DWORD dst_unused:UNUSED_PAD src0_sel:WORD_1 src1_sel:DWORD
	v_lshrrev_b32_e32 v63, 16, v26
	v_lshrrev_b32_e32 v64, 16, v29
	v_mul_f16_sdwa v65, v21, v28 dst_sel:DWORD dst_unused:UNUSED_PAD src0_sel:WORD_1 src1_sel:DWORD
	v_mul_f16_sdwa v66, v16, v26 dst_sel:DWORD dst_unused:UNUSED_PAD src0_sel:WORD_1 src1_sel:DWORD
	;; [unrolled: 1-line block ×3, first 2 shown]
	v_lshrrev_b32_e32 v68, 16, v27
	v_lshrrev_b32_e32 v69, 16, v30
	v_mul_f16_sdwa v70, v18, v27 dst_sel:DWORD dst_unused:UNUSED_PAD src0_sel:WORD_1 src1_sel:DWORD
	v_mul_f16_sdwa v71, v19, v30 dst_sel:DWORD dst_unused:UNUSED_PAD src0_sel:WORD_1 src1_sel:DWORD
	v_lshrrev_b32_e32 v72, 16, v31
	v_lshrrev_b32_e32 v73, 16, v34
	v_mul_f16_sdwa v74, v14, v34 dst_sel:DWORD dst_unused:UNUSED_PAD src0_sel:WORD_1 src1_sel:DWORD
	v_mul_f16_sdwa v75, v15, v31 dst_sel:DWORD dst_unused:UNUSED_PAD src0_sel:WORD_1 src1_sel:DWORD
	v_lshrrev_b32_e32 v76, 16, v35
	v_mul_f16_sdwa v77, v12, v35 dst_sel:DWORD dst_unused:UNUSED_PAD src0_sel:WORD_1 src1_sel:DWORD
	v_lshrrev_b32_e32 v78, 16, v59
	v_mul_f16_sdwa v79, v13, v59 dst_sel:DWORD dst_unused:UNUSED_PAD src0_sel:WORD_1 src1_sel:DWORD
	v_mul_f16_sdwa v85, v20, v60 dst_sel:DWORD dst_unused:UNUSED_PAD src0_sel:WORD_1 src1_sel:DWORD
	v_fma_f16 v60, v20, v60, -v62
	v_mul_f16_sdwa v62, v21, v61 dst_sel:DWORD dst_unused:UNUSED_PAD src0_sel:WORD_1 src1_sel:DWORD
	v_fma_f16 v61, v21, v61, -v65
	v_mul_f16_sdwa v65, v17, v64 dst_sel:DWORD dst_unused:UNUSED_PAD src0_sel:WORD_1 src1_sel:DWORD
	v_mul_f16_sdwa v86, v16, v63 dst_sel:DWORD dst_unused:UNUSED_PAD src0_sel:WORD_1 src1_sel:DWORD
	v_fma_f16 v63, v16, v63, -v66
	v_fma_f16 v64, v17, v64, -v67
	v_mul_f16_sdwa v66, v18, v68 dst_sel:DWORD dst_unused:UNUSED_PAD src0_sel:WORD_1 src1_sel:DWORD
	v_fma_f16 v67, v18, v68, -v70
	v_mul_f16_sdwa v68, v19, v69 dst_sel:DWORD dst_unused:UNUSED_PAD src0_sel:WORD_1 src1_sel:DWORD
	;; [unrolled: 2-line block ×3, first 2 shown]
	v_mul_f16_sdwa v71, v14, v73 dst_sel:DWORD dst_unused:UNUSED_PAD src0_sel:WORD_1 src1_sel:DWORD
	v_fma_f16 v73, v14, v73, -v74
	v_fma_f16 v72, v15, v72, -v75
	v_mul_f16_sdwa v74, v12, v76 dst_sel:DWORD dst_unused:UNUSED_PAD src0_sel:WORD_1 src1_sel:DWORD
	v_fma_f16 v76, v12, v76, -v77
	v_fma_f16 v77, v13, v78, -v79
	v_lshrrev_b32_e32 v81, 16, v37
	v_lshrrev_b32_e32 v83, 16, v39
	v_mul_f16_sdwa v75, v13, v78 dst_sel:DWORD dst_unused:UNUSED_PAD src0_sel:WORD_1 src1_sel:DWORD
	v_fmac_f16_e32 v85, v20, v25
	v_fmac_f16_e32 v62, v21, v28
	v_add_f16_e32 v25, v73, v72
	v_lshrrev_b32_e32 v82, 16, v38
	v_lshrrev_b32_e32 v84, 16, v24
	v_fmac_f16_e32 v65, v17, v29
	v_fmac_f16_e32 v86, v16, v26
	v_add_f16_e32 v28, v76, v77
	v_lshrrev_b32_e32 v80, 16, v36
	v_fmac_f16_e32 v66, v18, v27
	v_fmac_f16_e32 v68, v19, v30
	;; [unrolled: 1-line block ×6, first 2 shown]
	v_add_f16_e32 v13, v60, v61
	v_add_f16_e32 v15, v81, v63
	;; [unrolled: 1-line block ×5, first 2 shown]
	v_fmac_f16_e32 v83, -0.5, v25
	v_add_f16_e32 v25, v85, v62
	v_add_f16_e32 v18, v82, v67
	v_add_f16_e32 v27, v84, v76
	v_fmac_f16_e32 v84, -0.5, v28
	v_add_f16_e32 v28, v86, v65
	v_add_f16_e32 v12, v80, v60
	v_sub_f16_e32 v14, v60, v61
	v_add_f16_e32 v35, v66, v68
	v_add_f16_e32 v60, v71, v70
	v_sub_f16_e32 v17, v63, v64
	v_fmac_f16_e32 v80, -0.5, v13
	v_add_f16_e32 v13, v15, v64
	v_fmac_f16_e32 v81, -0.5, v16
	v_fmac_f16_e32 v82, -0.5, v19
	v_add_f16_e32 v16, v21, v72
	v_add_f16_e32 v19, v36, v85
	v_sub_f16_e32 v21, v85, v62
	v_add_f16_e32 v64, v74, v75
	v_fma_f16 v25, -0.5, v25, v36
	v_add_f16_e32 v15, v18, v69
	v_add_f16_e32 v18, v27, v77
	;; [unrolled: 1-line block ×3, first 2 shown]
	v_sub_f16_e32 v30, v86, v65
	v_fmac_f16_e32 v37, -0.5, v28
	v_sub_f16_e32 v20, v67, v69
	v_sub_f16_e32 v26, v73, v72
	v_add_f16_e32 v12, v12, v61
	v_add_f16_e32 v31, v38, v66
	v_sub_f16_e32 v34, v66, v68
	v_add_f16_e32 v59, v39, v71
	v_sub_f16_e32 v61, v71, v70
	v_fmac_f16_e32 v39, -0.5, v60
	v_fma_f16 v35, -0.5, v35, v38
	v_sub_f16_e32 v29, v76, v77
	v_add_f16_e32 v63, v24, v74
	v_sub_f16_e32 v66, v74, v75
	v_add_f16_e32 v19, v19, v62
	v_fmamk_f16 v62, v21, 0x3aee, v80
	v_fmac_f16_e32 v24, -0.5, v64
	v_fmamk_f16 v38, v14, 0xbaee, v25
	v_fmac_f16_e32 v80, 0xbaee, v21
	v_add_f16_e32 v21, v27, v65
	v_fmac_f16_e32 v25, 0x3aee, v14
	v_fmamk_f16 v27, v30, 0x3aee, v81
	v_fmamk_f16 v14, v17, 0xbaee, v37
	v_fmac_f16_e32 v81, 0xbaee, v30
	v_fmac_f16_e32 v37, 0x3aee, v17
	v_add_f16_e32 v28, v31, v68
	v_fmamk_f16 v30, v34, 0x3aee, v82
	v_fmac_f16_e32 v82, 0xbaee, v34
	v_add_f16_e32 v31, v59, v70
	v_fmamk_f16 v34, v61, 0x3aee, v83
	v_fmamk_f16 v17, v20, 0xbaee, v35
	v_fmac_f16_e32 v35, 0x3aee, v20
	v_fmamk_f16 v20, v26, 0xbaee, v39
	v_fmac_f16_e32 v83, 0xbaee, v61
	v_add_f16_e32 v59, v63, v75
	v_fmamk_f16 v36, v66, 0x3aee, v84
	v_fmac_f16_e32 v84, 0xbaee, v66
	v_fmac_f16_e32 v39, 0x3aee, v26
	v_fmamk_f16 v26, v29, 0xbaee, v24
	v_fmac_f16_e32 v24, 0x3aee, v29
	v_pack_b32_f16 v12, v19, v12
	v_pack_b32_f16 v19, v38, v62
	;; [unrolled: 1-line block ×15, first 2 shown]
	ds_write2_b32 v47, v12, v19 offset1:15
	ds_write_b32 v47, v21 offset:120
	ds_write2_b32 v58, v13, v14 offset1:15
	ds_write_b32 v58, v25 offset:120
	ds_write2_b32 v47, v15, v17 offset0:48 offset1:63
	ds_write_b32 v47, v27 offset:312
	ds_write2_b32 v57, v16, v20 offset1:15
	ds_write_b32 v57, v28 offset:120
	ds_write2_b32 v0, v18, v26 offset0:90 offset1:105
	ds_write_b32 v0, v24 offset:480
	s_waitcnt lgkmcnt(0)
	s_barrier
	buffer_gl0_inv
	ds_read2_b32 v[14:15], v47 offset1:9
	ds_read2_b32 v[12:13], v47 offset0:36 offset1:45
	ds_read2_b32 v[20:21], v47 offset0:90 offset1:99
	;; [unrolled: 1-line block ×3, first 2 shown]
	v_mad_u64_u32 v[25:26], null, s31, v1, v[33:34]
	ds_read2_b32 v[0:1], v47 offset0:18 offset1:27
	ds_read2_b32 v[18:19], v47 offset0:108 offset1:117
	;; [unrolled: 1-line block ×3, first 2 shown]
	ds_read_b32 v28, v47 offset:504
	v_mad_u64_u32 v[23:24], null, s29, v56, v[23:24]
	s_add_i32 s29, s3, s2
	v_mov_b32_e32 v33, v25
	s_sub_i32 s31, s4, s28
	v_lshlrev_b64 v[24:25], 2, v[32:33]
	s_waitcnt lgkmcnt(7)
	v_lshrrev_b32_e32 v29, 16, v14
	s_waitcnt lgkmcnt(6)
	v_lshrrev_b32_e32 v30, 16, v13
	;; [unrolled: 2-line block ×4, first 2 shown]
	v_mul_f16_sdwa v39, v6, v13 dst_sel:DWORD dst_unused:UNUSED_PAD src0_sel:WORD_1 src1_sel:DWORD
	v_mul_f16_sdwa v58, v7, v20 dst_sel:DWORD dst_unused:UNUSED_PAD src0_sel:WORD_1 src1_sel:DWORD
	v_lshrrev_b32_e32 v34, 16, v21
	v_mul_f16_sdwa v59, v4, v16 dst_sel:DWORD dst_unused:UNUSED_PAD src0_sel:WORD_1 src1_sel:DWORD
	v_mul_f16_sdwa v60, v5, v21 dst_sel:DWORD dst_unused:UNUSED_PAD src0_sel:WORD_1 src1_sel:DWORD
	v_lshrrev_b32_e32 v36, 16, v17
	s_waitcnt lgkmcnt(2)
	v_lshrrev_b32_e32 v37, 16, v18
	s_waitcnt lgkmcnt(1)
	v_lshrrev_b32_e32 v56, 16, v26
	v_lshrrev_b32_e32 v57, 16, v19
	v_mul_f16_sdwa v64, v10, v17 dst_sel:DWORD dst_unused:UNUSED_PAD src0_sel:WORD_1 src1_sel:DWORD
	v_mul_f16_sdwa v65, v11, v18 dst_sel:DWORD dst_unused:UNUSED_PAD src0_sel:WORD_1 src1_sel:DWORD
	;; [unrolled: 1-line block ×4, first 2 shown]
	v_lshrrev_b32_e32 v62, 16, v27
	s_waitcnt lgkmcnt(0)
	v_lshrrev_b32_e32 v63, 16, v28
	v_mul_f16_sdwa v68, v2, v27 dst_sel:DWORD dst_unused:UNUSED_PAD src0_sel:WORD_1 src1_sel:DWORD
	v_mul_f16_sdwa v69, v3, v28 dst_sel:DWORD dst_unused:UNUSED_PAD src0_sel:WORD_1 src1_sel:DWORD
	;; [unrolled: 1-line block ×3, first 2 shown]
	v_fma_f16 v30, v6, v30, -v39
	v_mul_f16_sdwa v39, v7, v31 dst_sel:DWORD dst_unused:UNUSED_PAD src0_sel:WORD_1 src1_sel:DWORD
	v_fma_f16 v31, v7, v31, -v58
	v_mul_f16_sdwa v71, v4, v33 dst_sel:DWORD dst_unused:UNUSED_PAD src0_sel:WORD_1 src1_sel:DWORD
	v_mul_f16_sdwa v58, v5, v34 dst_sel:DWORD dst_unused:UNUSED_PAD src0_sel:WORD_1 src1_sel:DWORD
	v_fma_f16 v33, v4, v33, -v59
	v_fma_f16 v34, v5, v34, -v60
	v_fma_f16 v59, v10, v36, -v64
	v_mul_f16_sdwa v36, v10, v36 dst_sel:DWORD dst_unused:UNUSED_PAD src0_sel:WORD_1 src1_sel:DWORD
	v_fma_f16 v60, v11, v37, -v65
	v_mul_f16_sdwa v37, v11, v37 dst_sel:DWORD dst_unused:UNUSED_PAD src0_sel:WORD_1 src1_sel:DWORD
	v_fma_f16 v64, v8, v56, -v66
	v_mul_f16_sdwa v56, v8, v56 dst_sel:DWORD dst_unused:UNUSED_PAD src0_sel:WORD_1 src1_sel:DWORD
	v_fma_f16 v65, v9, v57, -v67
	v_mul_f16_sdwa v57, v9, v57 dst_sel:DWORD dst_unused:UNUSED_PAD src0_sel:WORD_1 src1_sel:DWORD
	v_fma_f16 v66, v2, v62, -v68
	v_mul_f16_sdwa v62, v2, v62 dst_sel:DWORD dst_unused:UNUSED_PAD src0_sel:WORD_1 src1_sel:DWORD
	v_fma_f16 v67, v3, v63, -v69
	v_mul_f16_sdwa v63, v3, v63 dst_sel:DWORD dst_unused:UNUSED_PAD src0_sel:WORD_1 src1_sel:DWORD
	v_fmac_f16_e32 v70, v6, v13
	v_fmac_f16_e32 v39, v7, v20
	;; [unrolled: 1-line block ×3, first 2 shown]
	v_add_f16_e32 v4, v30, v31
	v_lshrrev_b32_e32 v32, 16, v15
	v_fmac_f16_e32 v58, v5, v21
	v_add_f16_e32 v7, v33, v34
	v_lshrrev_b32_e32 v35, 16, v0
	v_lshrrev_b32_e32 v38, 16, v1
	v_fmac_f16_e32 v36, v10, v17
	v_fmac_f16_e32 v37, v11, v18
	;; [unrolled: 1-line block ×4, first 2 shown]
	v_add_f16_e32 v10, v59, v60
	v_add_f16_e32 v16, v64, v65
	v_lshrrev_b32_e32 v61, 16, v12
	v_fmac_f16_e32 v62, v2, v27
	v_fmac_f16_e32 v63, v3, v28
	v_add_f16_e32 v3, v29, v30
	v_add_f16_e32 v19, v66, v67
	v_fmac_f16_e32 v29, -0.5, v4
	v_add_f16_e32 v4, v70, v39
	v_add_f16_e32 v6, v32, v33
	v_fmac_f16_e32 v32, -0.5, v7
	v_add_f16_e32 v7, v71, v58
	v_add_f16_e32 v9, v35, v59
	;; [unrolled: 1-line block ×3, first 2 shown]
	v_fmac_f16_e32 v35, -0.5, v10
	v_add_f16_e32 v10, v36, v37
	v_fmac_f16_e32 v38, -0.5, v16
	v_add_f16_e32 v16, v56, v57
	v_sub_f16_e32 v2, v30, v31
	v_add_f16_e32 v18, v61, v66
	v_sub_f16_e32 v21, v70, v39
	v_sub_f16_e32 v30, v36, v37
	v_fmac_f16_e32 v61, -0.5, v19
	v_add_f16_e32 v19, v62, v63
	v_fma_f16 v4, -0.5, v4, v14
	v_add_f16_e32 v20, v14, v70
	v_add_f16_e32 v26, v15, v71
	v_sub_f16_e32 v5, v33, v34
	v_sub_f16_e32 v27, v71, v58
	v_fmac_f16_e32 v15, -0.5, v7
	v_sub_f16_e32 v8, v59, v60
	v_sub_f16_e32 v11, v64, v65
	v_add_f16_e32 v3, v3, v31
	v_add_f16_e32 v28, v0, v36
	;; [unrolled: 1-line block ×3, first 2 shown]
	v_sub_f16_e32 v33, v56, v57
	v_fma_f16 v0, -0.5, v10, v0
	v_fmac_f16_e32 v1, -0.5, v16
	v_sub_f16_e32 v17, v66, v67
	v_add_f16_e32 v6, v6, v34
	v_add_f16_e32 v34, v12, v62
	v_sub_f16_e32 v36, v62, v63
	v_fmamk_f16 v14, v21, 0x3aee, v29
	v_fmamk_f16 v10, v30, 0x3aee, v35
	v_fmac_f16_e32 v35, 0xbaee, v30
	v_fmac_f16_e32 v12, -0.5, v19
	v_fmamk_f16 v30, v2, 0xbaee, v4
	v_fmac_f16_e32 v29, 0xbaee, v21
	v_fmac_f16_e32 v4, 0x3aee, v2
	v_add_f16_e32 v20, v20, v39
	v_add_f16_e32 v21, v26, v58
	v_fmamk_f16 v7, v27, 0x3aee, v32
	v_fmac_f16_e32 v32, 0xbaee, v27
	v_fmamk_f16 v2, v5, 0xbaee, v15
	v_fmac_f16_e32 v15, 0x3aee, v5
	v_add_f16_e32 v9, v9, v60
	v_add_f16_e32 v13, v13, v65
	;; [unrolled: 1-line block ×4, first 2 shown]
	v_fmamk_f16 v16, v33, 0x3aee, v38
	v_fmac_f16_e32 v38, 0xbaee, v33
	v_fmamk_f16 v5, v8, 0xbaee, v0
	v_fmac_f16_e32 v0, 0x3aee, v8
	;; [unrolled: 2-line block ×3, first 2 shown]
	v_add_f16_e32 v18, v18, v67
	v_add_f16_e32 v28, v34, v63
	v_fmamk_f16 v19, v36, 0x3aee, v61
	v_fmac_f16_e32 v61, 0xbaee, v36
	v_fmamk_f16 v11, v17, 0xbaee, v12
	v_fmac_f16_e32 v12, 0x3aee, v17
	v_pack_b32_f16 v14, v30, v14
	v_pack_b32_f16 v4, v4, v29
	;; [unrolled: 1-line block ×15, first 2 shown]
	ds_write_b32 v47, v14 offset:180
	ds_write_b32 v47, v4 offset:360
	ds_write2_b32 v47, v3, v6 offset1:9
	ds_write_b32 v47, v7 offset:396
	ds_write2_b32 v47, v2, v5 offset0:54 offset1:63
	ds_write2_b32 v47, v9, v13 offset0:18 offset1:27
	;; [unrolled: 1-line block ×3, first 2 shown]
	ds_write_b32 v47, v17 offset:144
	ds_write2_b32 v47, v8, v10 offset0:72 offset1:81
	ds_write_b32 v47, v11 offset:504
	s_waitcnt lgkmcnt(0)
	s_barrier
	buffer_gl0_inv
	ds_read2_b32 v[8:9], v47 offset1:9
	ds_read2_b32 v[4:5], v47 offset0:18 offset1:27
	ds_read2_b32 v[12:13], v47 offset0:54 offset1:63
	;; [unrolled: 1-line block ×5, first 2 shown]
	v_lshlrev_b64 v[10:11], 2, v[22:23]
	v_add_co_u32 v14, vcc_lo, s0, v24
	v_add_co_ci_u32_e32 v15, vcc_lo, s1, v25, vcc_lo
	v_add_co_u32 v14, vcc_lo, v14, v10
	v_add_co_ci_u32_e32 v15, vcc_lo, v15, v11, vcc_lo
	;; [unrolled: 2-line block ×3, first 2 shown]
	s_waitcnt lgkmcnt(4)
	v_lshrrev_b32_e32 v18, 16, v5
	v_mul_f16_sdwa v19, v49, v5 dst_sel:DWORD dst_unused:UNUSED_PAD src0_sel:WORD_1 src1_sel:DWORD
	s_waitcnt lgkmcnt(3)
	v_lshrrev_b32_e32 v20, 16, v12
	v_mul_f16_sdwa v21, v50, v12 dst_sel:DWORD dst_unused:UNUSED_PAD src0_sel:WORD_1 src1_sel:DWORD
	v_lshrrev_b32_e32 v16, 16, v8
	v_mul_f16_sdwa v17, v48, v8 dst_sel:DWORD dst_unused:UNUSED_PAD src0_sel:WORD_1 src1_sel:DWORD
	s_waitcnt lgkmcnt(2)
	v_lshrrev_b32_e32 v22, 16, v1
	v_mul_f16_sdwa v23, v51, v1 dst_sel:DWORD dst_unused:UNUSED_PAD src0_sel:WORD_1 src1_sel:DWORD
	;; [unrolled: 5-line block ×3, first 2 shown]
	v_fma_f16 v19, v49, v18, -v19
	v_fma_f16 v21, v50, v20, -v21
	v_lshrrev_b32_e32 v24, 16, v6
	v_mul_f16_sdwa v25, v52, v6 dst_sel:DWORD dst_unused:UNUSED_PAD src0_sel:WORD_1 src1_sel:DWORD
	v_fma_f16 v17, v48, v16, -v17
	v_fma_f16 v23, v51, v22, -v23
	v_mul_f16_sdwa v30, v48, v16 dst_sel:DWORD dst_unused:UNUSED_PAD src0_sel:WORD_1 src1_sel:DWORD
	v_fma_f16 v16, v53, v26, -v27
	v_fma_f16 v27, v55, v28, -v29
	v_mul_f16_sdwa v26, v53, v26 dst_sel:DWORD dst_unused:UNUSED_PAD src0_sel:WORD_1 src1_sel:DWORD
	v_mul_f16_sdwa v29, v49, v18 dst_sel:DWORD dst_unused:UNUSED_PAD src0_sel:WORD_1 src1_sel:DWORD
	;; [unrolled: 1-line block ×4, first 2 shown]
	v_cvt_f32_f16_e32 v18, v19
	v_cvt_f32_f16_e32 v19, v21
	v_fma_f16 v25, v52, v24, -v25
	v_mul_f16_sdwa v32, v52, v24 dst_sel:DWORD dst_unused:UNUSED_PAD src0_sel:WORD_1 src1_sel:DWORD
	v_cvt_f32_f16_e32 v17, v17
	v_cvt_f32_f16_e32 v21, v23
	v_fmac_f16_e32 v30, v48, v8
	v_fmac_f16_e32 v26, v53, v9
	v_fmac_f16_e32 v31, v51, v1
	v_fmac_f16_e32 v28, v55, v2
	v_cvt_f64_f32_e32 v[1:2], v18
	v_cvt_f64_f32_e32 v[8:9], v19
	v_cvt_f32_f16_e32 v22, v25
	v_cvt_f32_f16_e32 v23, v16
	v_fmac_f16_e32 v29, v49, v5
	v_fmac_f16_e32 v32, v52, v6
	v_cvt_f64_f32_e32 v[5:6], v17
	v_cvt_f64_f32_e32 v[16:17], v21
	;; [unrolled: 1-line block ×3, first 2 shown]
	v_lshrrev_b32_e32 v56, 16, v13
	v_mul_f16_sdwa v20, v50, v20 dst_sel:DWORD dst_unused:UNUSED_PAD src0_sel:WORD_1 src1_sel:DWORD
	v_cvt_f32_f16_e32 v24, v27
	v_cvt_f64_f32_e32 v[22:23], v23
	v_cvt_f32_f16_e32 v38, v28
	v_mul_f16_sdwa v57, v54, v56 dst_sel:DWORD dst_unused:UNUSED_PAD src0_sel:WORD_1 src1_sel:DWORD
	v_fmac_f16_e32 v20, v50, v12
	v_cvt_f32_f16_e32 v12, v30
	v_cvt_f64_f32_e32 v[24:25], v24
	v_cvt_f32_f16_e32 v36, v26
	v_cvt_f64_f32_e32 v[38:39], v38
	v_mul_f16_sdwa v50, v54, v13 dst_sel:DWORD dst_unused:UNUSED_PAD src0_sel:WORD_1 src1_sel:DWORD
	v_cvt_f64_f32_e32 v[26:27], v12
	v_fmac_f16_e32 v57, v54, v13
	v_mul_f64 v[1:2], v[1:2], s[26:27]
	v_mul_f64 v[12:13], v[8:9], s[26:27]
	v_cvt_f32_f16_e32 v21, v29
	v_cvt_f32_f16_e32 v20, v20
	;; [unrolled: 1-line block ×4, first 2 shown]
	v_mul_f64 v[48:49], v[16:17], s[26:27]
	v_mul_f64 v[18:19], v[18:19], s[26:27]
	v_cvt_f64_f32_e32 v[28:29], v21
	v_cvt_f64_f32_e32 v[30:31], v20
	v_cvt_f64_f32_e32 v[32:33], v33
	v_cvt_f64_f32_e32 v[34:35], v34
	v_cvt_f64_f32_e32 v[36:37], v36
	v_mul_f64 v[5:6], v[5:6], s[26:27]
	v_mul_f64 v[22:23], v[22:23], s[26:27]
	v_add_co_u32 v20, vcc_lo, v10, s30
	v_mul_f64 v[8:9], v[24:25], s[26:27]
	v_mul_f64 v[16:17], v[38:39], s[26:27]
	v_add_co_ci_u32_e32 v21, vcc_lo, s29, v11, vcc_lo
	v_mul_f64 v[24:25], v[26:27], s[26:27]
	v_and_or_b32 v38, 0x1ff, v2, v1
	v_and_or_b32 v1, 0x1ff, v13, v12
	v_lshrrev_b32_e32 v12, 8, v13
	v_bfe_u32 v53, v13, 20, 11
	v_fma_f16 v50, v54, v56, -v50
	v_cvt_f32_f16_e32 v51, v57
	v_and_or_b32 v48, 0x1ff, v49, v48
	v_cmp_ne_u32_e32 vcc_lo, 0, v1
	v_bfe_u32 v55, v49, 20, 11
	v_and_or_b32 v18, 0x1ff, v19, v18
	v_mul_f64 v[26:27], v[28:29], s[26:27]
	v_mul_f64 v[28:29], v[30:31], s[26:27]
	v_cndmask_b32_e64 v1, 0, 1, vcc_lo
	v_cmp_ne_u32_e32 vcc_lo, 0, v48
	v_mul_f64 v[30:31], v[32:33], s[26:27]
	v_mul_f64 v[32:33], v[34:35], s[26:27]
	;; [unrolled: 1-line block ×3, first 2 shown]
	v_and_or_b32 v5, 0x1ff, v6, v5
	v_lshrrev_b32_e32 v36, 8, v6
	v_bfe_u32 v37, v6, 20, 11
	v_lshrrev_b32_e32 v39, 8, v2
	v_bfe_u32 v52, v2, 20, 11
	v_lshrrev_b32_e32 v54, 8, v49
	v_lshrrev_b32_e32 v56, 8, v19
	v_bfe_u32 v57, v19, 20, 11
	v_and_or_b32 v22, 0x1ff, v23, v22
	v_lshrrev_b32_e32 v62, 16, v6
	v_lshrrev_b32_e32 v63, 16, v2
	v_lshrrev_b32_e32 v65, 16, v19
	v_sub_nc_u32_e32 v2, 0x3f1, v53
	v_sub_nc_u32_e32 v6, 0x3f1, v55
	v_cndmask_b32_e64 v19, 0, 1, vcc_lo
	v_cmp_ne_u32_e32 vcc_lo, 0, v18
	v_and_or_b32 v81, 0xffe, v12, v1
	v_and_or_b32 v8, 0x1ff, v9, v8
	v_bfe_u32 v61, v9, 20, 11
	v_med3_i32 v1, v2, 0, 13
	v_cndmask_b32_e64 v18, 0, 1, vcc_lo
	v_cmp_ne_u32_e32 vcc_lo, 0, v22
	v_and_or_b32 v54, 0xffe, v54, v19
	v_med3_i32 v2, v6, 0, 13
	v_or_b32_e32 v6, 0x1000, v81
	v_lshrrev_b32_e32 v58, 8, v23
	v_bfe_u32 v59, v23, 20, 11
	v_lshrrev_b32_e32 v64, 16, v13
	v_sub_nc_u32_e32 v13, 0x3f1, v57
	v_cndmask_b32_e64 v22, 0, 1, vcc_lo
	v_cmp_ne_u32_e32 vcc_lo, 0, v8
	v_sub_nc_u32_e32 v48, 0x3f1, v61
	v_and_or_b32 v24, 0x1ff, v25, v24
	v_and_or_b32 v56, 0xffe, v56, v18
	v_lshrrev_b32_e32 v82, v1, v6
	v_or_b32_e32 v18, 0x1000, v54
	v_lshrrev_b32_e32 v60, 8, v9
	v_lshrrev_b32_e32 v66, 16, v23
	v_sub_nc_u32_e32 v23, 0x3f1, v59
	v_cndmask_b32_e64 v8, 0, 1, vcc_lo
	v_med3_i32 v12, v13, 0, 13
	v_and_or_b32 v58, 0xffe, v58, v22
	v_med3_i32 v19, v48, 0, 13
	v_or_b32_e32 v22, 0x1000, v56
	v_lshlrev_b32_e32 v1, v1, v82
	v_lshrrev_b32_e32 v48, v2, v18
	v_cmp_ne_u32_e32 vcc_lo, 0, v24
	v_and_or_b32 v26, 0x1ff, v27, v26
	v_and_or_b32 v28, 0x1ff, v29, v28
	;; [unrolled: 1-line block ×3, first 2 shown]
	v_med3_i32 v13, v23, 0, 13
	v_and_or_b32 v8, 0xffe, v60, v8
	v_cndmask_b32_e64 v23, 0, 1, vcc_lo
	v_cmp_ne_u32_e32 vcc_lo, v1, v6
	v_lshrrev_b32_e32 v60, v12, v22
	v_lshlrev_b32_e32 v1, v2, v48
	v_or_b32_e32 v2, 0x1000, v58
	v_and_or_b32 v32, 0x1ff, v33, v32
	v_cmp_ne_u32_e64 s0, 0, v26
	v_lshlrev_b32_e32 v12, v12, v60
	v_cmp_ne_u32_e64 s1, 0, v28
	v_lshrrev_b32_e32 v26, v13, v2
	v_cmp_ne_u32_e64 s2, 0, v30
	v_cndmask_b32_e64 v6, 0, 1, s0
	v_cmp_ne_u32_e64 s0, v1, v18
	v_cndmask_b32_e64 v18, 0, 1, s1
	v_cmp_ne_u32_e64 s1, v12, v22
	v_lshlrev_b32_e32 v13, v13, v26
	v_cndmask_b32_e64 v22, 0, 1, s2
	v_cmp_ne_u32_e64 s2, 0, v32
	v_lshrrev_b32_e32 v67, 8, v25
	v_bfe_u32 v68, v25, 20, 11
	v_lshrrev_b32_e32 v69, 8, v27
	v_and_or_b32 v34, 0x1ff, v35, v34
	v_cndmask_b32_e64 v30, 0, 1, s2
	v_cmp_ne_u32_e64 s2, v13, v2
	v_or_b32_e32 v13, 0x1000, v8
	v_bfe_u32 v70, v27, 20, 11
	v_lshrrev_b32_e32 v71, 8, v29
	v_and_or_b32 v16, 0x1ff, v17, v16
	v_sub_nc_u32_e32 v24, 0x3f1, v68
	v_cmp_ne_u32_e64 s3, 0, v34
	v_and_or_b32 v34, 0xffe, v67, v23
	v_and_or_b32 v67, 0xffe, v69, v6
	v_lshrrev_b32_e32 v69, v19, v13
	v_bfe_u32 v72, v29, 20, 11
	v_lshrrev_b32_e32 v73, 8, v31
	v_sub_nc_u32_e32 v1, 0x3f1, v70
	v_cndmask_b32_e64 v32, 0, 1, s3
	v_cmp_ne_u32_e64 s3, 0, v16
	v_med3_i32 v16, v24, 0, 13
	v_and_or_b32 v71, 0xffe, v71, v18
	v_lshlrev_b32_e32 v18, v19, v69
	v_or_b32_e32 v19, 0x1000, v34
	v_bfe_u32 v74, v31, 20, 11
	v_lshrrev_b32_e32 v75, 8, v33
	v_sub_nc_u32_e32 v12, 0x3f1, v72
	v_med3_i32 v1, v1, 0, 13
	v_and_or_b32 v73, 0xffe, v73, v22
	v_or_b32_e32 v22, 0x1000, v67
	v_lshrrev_b32_e32 v24, v16, v19
	v_bfe_u32 v76, v33, 20, 11
	v_lshrrev_b32_e32 v77, 8, v35
	v_sub_nc_u32_e32 v28, 0x3f1, v74
	v_cndmask_b32_e64 v6, 0, 1, s3
	v_cmp_ne_u32_e64 s3, v18, v13
	v_med3_i32 v12, v12, 0, 13
	v_and_or_b32 v30, 0xffe, v75, v30
	v_lshrrev_b32_e32 v75, v1, v22
	v_lshlrev_b32_e32 v16, v16, v24
	v_or_b32_e32 v18, 0x1000, v71
	v_sub_nc_u32_e32 v2, 0x3f1, v76
	v_and_or_b32 v32, 0xffe, v77, v32
	v_med3_i32 v28, v28, 0, 13
	v_lshlrev_b32_e32 v1, v1, v75
	v_cmp_ne_u32_e64 s4, v16, v19
	v_or_b32_e32 v16, 0x1000, v73
	v_lshrrev_b32_e32 v77, v12, v18
	v_med3_i32 v2, v2, 0, 13
	v_cmp_ne_u32_e64 s5, v1, v22
	v_bfe_u32 v78, v35, 20, 11
	v_lshrrev_b32_e32 v83, v28, v16
	v_lshlrev_b32_e32 v1, v12, v77
	v_or_b32_e32 v12, 0x1000, v30
	v_lshrrev_b32_e32 v79, 8, v17
	v_lshrrev_b32_e32 v80, 16, v25
	v_lshlrev_b32_e32 v22, v28, v83
	v_bfe_u32 v25, v17, 20, 11
	v_lshrrev_b32_e32 v28, v2, v12
	v_cmp_ne_u32_e64 s6, v1, v18
	v_sub_nc_u32_e32 v23, 0x3f1, v78
	v_cmp_ne_u32_e64 s7, v22, v16
	v_sub_nc_u32_e32 v13, 0x3f1, v25
	v_lshlrev_b32_e32 v22, v2, v28
	v_cvt_f64_f32_e32 v[1:2], v51
	v_and_or_b32 v79, 0xffe, v79, v6
	v_med3_i32 v19, v23, 0, 13
	v_or_b32_e32 v6, 0x1000, v32
	v_cmp_ne_u32_e64 s8, v22, v12
	v_add_co_u32 v22, s9, v20, s30
	v_add_co_ci_u32_e64 v23, s9, s29, v21, s9
	v_med3_i32 v13, v13, 0, 13
	v_or_b32_e32 v18, 0x1000, v79
	v_cmp_ne_u32_e64 s9, 0, v5
	v_lshrrev_b32_e32 v16, v19, v6
	v_sub_nc_u32_e32 v85, 0x3f1, v37
	v_cmp_ne_u32_e64 s11, 0, v38
	v_lshrrev_b32_e32 v51, v13, v18
	v_cndmask_b32_e64 v5, 0, 1, s9
	v_lshlrev_b32_e32 v19, v19, v16
	v_add_co_u32 v12, s10, v22, s30
	v_lshlrev_b32_e32 v84, v13, v51
	v_and_or_b32 v36, 0xffe, v36, v5
	v_add_co_ci_u32_e64 v13, s10, s29, v23, s10
	v_cmp_ne_u32_e64 s9, v19, v6
	v_cmp_ne_u32_e64 s10, v84, v18
	v_mul_f64 v[18:19], v[1:2], s[26:27]
	v_lshrrev_b32_e32 v1, 16, v31
	v_med3_i32 v2, v85, 0, 13
	v_or_b32_e32 v31, 0x1000, v36
	v_cndmask_b32_e64 v38, 0, 1, s11
	v_sub_nc_u32_e32 v84, 0x3f1, v52
	v_add_nc_u32_e32 v37, 0xfffffc10, v37
	v_add_nc_u32_e32 v53, 0xfffffc10, v53
	v_lshrrev_b32_e32 v85, v2, v31
	v_and_or_b32 v38, 0xffe, v39, v38
	v_add_nc_u32_e32 v39, 0xfffffc10, v52
	v_med3_i32 v52, v84, 0, 13
	v_add_nc_u32_e32 v55, 0xfffffc10, v55
	v_lshlrev_b32_e32 v2, v2, v85
	v_or_b32_e32 v84, 0x1000, v38
	v_add_nc_u32_e32 v57, 0xfffffc10, v57
	v_add_nc_u32_e32 v74, 0xfffffc10, v74
	v_cmp_ne_u32_e64 s21, 0, v81
	v_cmp_ne_u32_e64 s11, v2, v31
	v_lshrrev_b32_e32 v2, v52, v84
	v_add_nc_u32_e32 v31, 0xfffffc10, v59
	v_add_nc_u32_e32 v59, 0xfffffc10, v68
	;; [unrolled: 1-line block ×4, first 2 shown]
	v_lshlrev_b32_e32 v52, v52, v2
	v_add_nc_u32_e32 v72, 0xfffffc10, v76
	v_add_nc_u32_e32 v76, 0xfffffc10, v78
	v_cndmask_b32_e64 v78, 0, 1, s11
	v_cvt_f32_f16_e32 v50, v50
	v_cmp_ne_u32_e64 s11, v52, v84
	v_add_nc_u32_e32 v84, 0xfffffc10, v25
	v_cndmask_b32_e64 v25, 0, 1, vcc_lo
	v_or_b32_e32 v78, v85, v78
	v_cndmask_b32_e64 v85, 0, 1, s0
	v_cndmask_b32_e64 v52, 0, 1, s11
	v_cmp_gt_i32_e32 vcc_lo, 1, v37
	v_or_b32_e32 v25, v82, v25
	v_cndmask_b32_e64 v82, 0, 1, s2
	v_or_b32_e32 v48, v48, v85
	v_or_b32_e32 v2, v2, v52
	v_cndmask_b32_e64 v52, 0, 1, s1
	v_cndmask_b32_e64 v85, 0, 1, s3
	v_or_b32_e32 v26, v26, v82
	v_lshl_or_b32 v82, v37, 12, v36
	v_cmp_ne_u32_e64 s19, 0, v36
	v_or_b32_e32 v52, v60, v52
	v_cndmask_b32_e64 v60, 0, 1, s4
	v_or_b32_e32 v69, v69, v85
	v_cndmask_b32_e64 v85, 0, 1, s5
	v_cndmask_b32_e32 v78, v82, v78, vcc_lo
	v_cmp_gt_i32_e32 vcc_lo, 1, v39
	v_or_b32_e32 v24, v24, v60
	v_lshl_or_b32 v60, v39, 12, v38
	v_cndmask_b32_e64 v82, 0, 1, s6
	v_or_b32_e32 v75, v75, v85
	v_lshl_or_b32 v85, v53, 12, v81
	v_and_or_b32 v18, 0x1ff, v19, v18
	v_cndmask_b32_e32 v2, v60, v2, vcc_lo
	v_cmp_gt_i32_e32 vcc_lo, 1, v53
	v_cndmask_b32_e64 v60, 0, 1, s7
	v_or_b32_e32 v77, v77, v82
	v_lshl_or_b32 v82, v55, 12, v54
	v_cndmask_b32_e64 v36, 0, 1, s19
	v_cndmask_b32_e32 v85, v85, v25, vcc_lo
	v_cmp_gt_i32_e32 vcc_lo, 1, v55
	v_cndmask_b32_e64 v25, 0, 1, s8
	v_or_b32_e32 v60, v83, v60
	v_lshl_or_b32 v83, v57, 12, v56
	v_lshrrev_b32_e32 v81, 2, v85
	v_cndmask_b32_e32 v48, v82, v48, vcc_lo
	v_cmp_gt_i32_e32 vcc_lo, 1, v57
	v_cndmask_b32_e64 v82, 0, 1, s9
	v_or_b32_e32 v25, v28, v25
	v_lshl_or_b32 v28, v31, 12, v58
	v_cmp_ne_u32_e64 s19, 0, v38
	v_cndmask_b32_e32 v52, v83, v52, vcc_lo
	v_cmp_gt_i32_e32 vcc_lo, 1, v31
	v_or_b32_e32 v16, v16, v82
	v_lshl_or_b32 v82, v59, 12, v34
	v_cndmask_b32_e64 v83, 0, 1, s10
	v_cmp_ne_u32_e64 s17, 0, v18
	v_cndmask_b32_e32 v26, v28, v26, vcc_lo
	v_cmp_gt_i32_e32 vcc_lo, 1, v59
	v_lshl_or_b32 v28, v68, 12, v67
	v_or_b32_e32 v51, v51, v83
	v_lshl_or_b32 v83, v70, 12, v71
	v_cndmask_b32_e64 v38, 0, 1, s19
	v_cndmask_b32_e32 v82, v82, v24, vcc_lo
	v_cmp_gt_i32_e32 vcc_lo, 1, v68
	v_lshl_or_b32 v24, v72, 12, v30
	v_cmp_ne_u32_e64 s23, 0, v56
	v_cndmask_b32_e64 v18, 0, 1, s17
	v_lshl_or_b32 v36, v36, 9, 0x7c00
	v_cndmask_b32_e32 v28, v28, v75, vcc_lo
	v_cmp_gt_i32_e32 vcc_lo, 1, v70
	v_lshl_or_b32 v75, v74, 12, v73
	v_cndmask_b32_e64 v56, 0, 1, s23
	v_cmp_ne_u32_e64 s23, 0, v58
	v_lshl_or_b32 v38, v38, 9, 0x7c00
	v_cndmask_b32_e32 v77, v83, v77, vcc_lo
	v_cmp_gt_i32_e32 vcc_lo, 1, v74
	v_lshl_or_b32 v83, v76, 12, v32
	v_cndmask_b32_e64 v58, 0, 1, s23
	v_lshl_or_b32 v56, v56, 9, 0x7c00
	v_cmp_ne_u32_e64 s25, 0, v34
	v_cndmask_b32_e32 v60, v75, v60, vcc_lo
	v_cmp_gt_i32_e32 vcc_lo, 1, v72
	v_lshl_or_b32 v75, v84, 12, v79
	v_lshl_or_b32 v58, v58, 9, 0x7c00
	v_cndmask_b32_e64 v34, 0, 1, s25
	v_cmp_ne_u32_e64 s25, 0, v67
	v_cndmask_b32_e32 v86, v24, v25, vcc_lo
	v_cmp_gt_i32_e32 vcc_lo, 1, v76
	v_and_b32_e32 v24, 7, v78
	v_and_b32_e32 v25, 7, v2
	v_lshrrev_b32_e32 v78, 2, v78
	v_lshrrev_b32_e32 v2, 2, v2
	v_cndmask_b32_e32 v16, v83, v16, vcc_lo
	v_cmp_gt_i32_e32 vcc_lo, 1, v84
	v_cmp_eq_u32_e64 s0, 3, v24
	v_cmp_lt_i32_e64 s1, 5, v25
	v_cmp_eq_u32_e64 s2, 3, v25
	v_and_b32_e32 v25, 7, v52
	v_cndmask_b32_e32 v51, v75, v51, vcc_lo
	v_cmp_lt_i32_e32 vcc_lo, 5, v24
	v_and_b32_e32 v75, 7, v85
	v_and_b32_e32 v24, 7, v48
	v_lshrrev_b32_e32 v48, 2, v48
	v_cmp_lt_i32_e64 s7, 5, v25
	s_or_b32 vcc_lo, s0, vcc_lo
	v_cmp_lt_i32_e64 s3, 5, v75
	v_cmp_eq_u32_e64 s4, 3, v75
	v_add_co_ci_u32_e32 v78, vcc_lo, 0, v78, vcc_lo
	s_or_b32 vcc_lo, s2, s1
	v_cmp_lt_i32_e64 s5, 5, v24
	v_cmp_eq_u32_e64 s6, 3, v24
	v_and_b32_e32 v75, 7, v26
	v_add_co_ci_u32_e32 v2, vcc_lo, 0, v2, vcc_lo
	s_or_b32 vcc_lo, s4, s3
	v_cmp_eq_u32_e64 s8, 3, v25
	v_add_co_ci_u32_e32 v81, vcc_lo, 0, v81, vcc_lo
	v_lshrrev_b32_e32 v52, 2, v52
	s_or_b32 vcc_lo, s6, s5
	v_cmp_lt_i32_e64 s9, 5, v75
	v_cmp_eq_u32_e64 s10, 3, v75
	v_add_co_ci_u32_e32 v48, vcc_lo, 0, v48, vcc_lo
	v_lshrrev_b32_e32 v26, 2, v26
	s_or_b32 vcc_lo, s8, s7
	v_and_b32_e32 v24, 7, v82
	v_add_co_ci_u32_e32 v52, vcc_lo, 0, v52, vcc_lo
	s_or_b32 vcc_lo, s10, s9
	v_lshrrev_b32_e32 v82, 2, v82
	v_add_co_ci_u32_e32 v26, vcc_lo, 0, v26, vcc_lo
	v_cmp_gt_i32_e32 vcc_lo, 31, v37
	v_cmp_lt_i32_e64 s11, 5, v24
	v_cmp_eq_u32_e64 s12, 3, v24
	v_and_b32_e32 v25, 7, v28
	v_and_b32_e32 v75, 7, v77
	v_cndmask_b32_e32 v78, 0x7c00, v78, vcc_lo
	v_cmp_gt_i32_e32 vcc_lo, 31, v39
	v_lshrrev_b32_e32 v28, 2, v28
	v_cmp_lt_i32_e64 s13, 5, v25
	v_cmp_eq_u32_e64 s14, 3, v25
	v_cvt_f64_f32_e32 v[24:25], v50
	v_cndmask_b32_e32 v2, 0x7c00, v2, vcc_lo
	v_cmp_gt_i32_e32 vcc_lo, 31, v53
	v_add_nc_u32_e32 v50, 0xfffffc10, v61
	v_and_b32_e32 v61, 7, v86
	v_and_b32_e32 v83, 7, v60
	v_cmp_lt_i32_e64 s15, 5, v75
	v_cndmask_b32_e32 v81, 0x7c00, v81, vcc_lo
	v_cmp_gt_i32_e32 vcc_lo, 31, v55
	v_cmp_eq_u32_e64 s16, 3, v75
	v_cmp_lt_i32_e64 s19, 5, v61
	v_cmp_eq_u32_e64 s20, 3, v61
	v_and_b32_e32 v61, 7, v16
	v_cndmask_b32_e32 v48, 0x7c00, v48, vcc_lo
	v_cmp_gt_i32_e32 vcc_lo, 31, v57
	v_cndmask_b32_e64 v75, 0, 1, s21
	v_cmp_ne_u32_e64 s21, 0, v54
	v_lshrrev_b32_e32 v77, 2, v77
	v_cmp_lt_i32_e64 s17, 5, v83
	v_cndmask_b32_e32 v52, 0x7c00, v52, vcc_lo
	s_or_b32 vcc_lo, s12, s11
	v_cmp_eq_u32_e64 s18, 3, v83
	v_add_co_ci_u32_e32 v82, vcc_lo, 0, v82, vcc_lo
	v_cmp_gt_i32_e32 vcc_lo, 31, v31
	v_lshrrev_b32_e32 v83, 2, v86
	v_cndmask_b32_e64 v54, 0, 1, s21
	v_cmp_lt_i32_e64 s21, 5, v61
	v_cmp_eq_u32_e64 s22, 3, v61
	v_cndmask_b32_e32 v26, 0x7c00, v26, vcc_lo
	s_or_b32 vcc_lo, s14, s13
	v_and_b32_e32 v61, 7, v51
	v_add_co_ci_u32_e32 v28, vcc_lo, 0, v28, vcc_lo
	s_or_b32 vcc_lo, s16, s15
	v_lshrrev_b32_e32 v60, 2, v60
	v_add_co_ci_u32_e32 v77, vcc_lo, 0, v77, vcc_lo
	s_or_b32 vcc_lo, s20, s19
	v_lshrrev_b32_e32 v16, 2, v16
	v_add_co_ci_u32_e32 v83, vcc_lo, 0, v83, vcc_lo
	s_or_b32 vcc_lo, s18, s17
	v_cmp_lt_i32_e64 s23, 5, v61
	v_cmp_eq_u32_e64 s24, 3, v61
	v_add_co_ci_u32_e32 v60, vcc_lo, 0, v60, vcc_lo
	v_lshrrev_b32_e32 v51, 2, v51
	s_or_b32 vcc_lo, s22, s21
	v_lshl_or_b32 v75, v75, 9, 0x7c00
	v_add_co_ci_u32_e32 v16, vcc_lo, 0, v16, vcc_lo
	s_or_b32 vcc_lo, s24, s23
	v_lshl_or_b32 v54, v54, 9, 0x7c00
	v_add_co_ci_u32_e32 v51, vcc_lo, 0, v51, vcc_lo
	v_cmp_eq_u32_e32 vcc_lo, 0x40f, v37
	v_cndmask_b32_e64 v67, 0, 1, s25
	v_cmp_ne_u32_e64 s25, 0, v71
	v_lshl_or_b32 v34, v34, 9, 0x7c00
	v_lshrrev_b32_e32 v27, 16, v27
	v_cndmask_b32_e32 v36, v78, v36, vcc_lo
	v_cmp_eq_u32_e32 vcc_lo, 0x40f, v39
	v_cndmask_b32_e64 v71, 0, 1, s25
	v_cmp_ne_u32_e64 s25, 0, v30
	v_lshl_or_b32 v67, v67, 9, 0x7c00
	v_lshrrev_b32_e32 v35, 16, v35
	v_cndmask_b32_e32 v2, v2, v38, vcc_lo
	;; [unrolled: 6-line block ×4, first 2 shown]
	v_cmp_eq_u32_e32 vcc_lo, 0x40f, v57
	v_lshl_or_b32 v73, v73, 9, 0x7c00
	v_cndmask_b32_e64 v32, 0, 1, s25
	v_lshrrev_b32_e32 v49, 16, v49
	v_and_or_b32 v36, 0x8000, v62, v36
	v_cndmask_b32_e32 v39, v52, v56, vcc_lo
	v_cmp_gt_i32_e32 vcc_lo, 31, v59
	v_lshl_or_b32 v32, v32, 9, 0x7c00
	v_and_or_b32 v2, 0x8000, v63, v2
	v_and_or_b32 v38, 0x8000, v49, v38
	v_lshl_or_b32 v61, v50, 12, v8
	v_cndmask_b32_e32 v48, 0x7c00, v82, vcc_lo
	v_cmp_eq_u32_e32 vcc_lo, 0x40f, v31
	v_and_or_b32 v37, 0x8000, v64, v37
	v_lshrrev_b32_e32 v17, 16, v17
	v_mad_u64_u32 v[5:6], null, 0xfffffe74, s28, v[12:13]
	v_cndmask_b32_e32 v26, v26, v58, vcc_lo
	v_cmp_gt_i32_e32 vcc_lo, 31, v68
	v_and_or_b32 v39, 0x8000, v65, v39
	v_and_or_b32 v26, 0x8000, v66, v26
	v_cndmask_b32_e32 v28, 0x7c00, v28, vcc_lo
	v_cmp_gt_i32_e32 vcc_lo, 31, v70
	v_add_nc_u32_e32 v6, s31, v6
	v_cndmask_b32_e32 v31, 0x7c00, v77, vcc_lo
	v_cmp_gt_i32_e32 vcc_lo, 31, v74
	v_cndmask_b32_e32 v52, 0x7c00, v60, vcc_lo
	v_cmp_gt_i32_e32 vcc_lo, 31, v72
	v_cndmask_b32_e32 v53, 0x7c00, v83, vcc_lo
	v_cmp_gt_i32_e32 vcc_lo, 31, v76
	v_cndmask_b32_e32 v16, 0x7c00, v16, vcc_lo
	v_cmp_eq_u32_e32 vcc_lo, 0x40f, v59
	v_cndmask_b32_e32 v34, v48, v34, vcc_lo
	v_cmp_eq_u32_e32 vcc_lo, 0x40f, v68
	;; [unrolled: 2-line block ×3, first 2 shown]
	v_and_or_b32 v27, 0x8000, v27, v28
	v_cndmask_b32_e32 v31, v31, v71, vcc_lo
	v_cmp_eq_u32_e32 vcc_lo, 0x40f, v74
	v_and_b32_e32 v27, 0xffff, v27
	v_and_or_b32 v28, 0x8000, v29, v31
	v_cndmask_b32_e32 v48, v52, v73, vcc_lo
	v_cmp_eq_u32_e32 vcc_lo, 0x40f, v72
	v_lshl_or_b32 v27, v2, 16, v27
	v_and_b32_e32 v28, 0xffff, v28
	v_and_or_b32 v1, 0x8000, v1, v48
	v_cndmask_b32_e32 v30, v53, v30, vcc_lo
	v_cmp_eq_u32_e32 vcc_lo, 0x40f, v76
	v_lshl_or_b32 v28, v37, 16, v28
	v_and_b32_e32 v1, 0xffff, v1
	v_and_or_b32 v29, 0x8000, v33, v30
	v_cndmask_b32_e32 v16, v16, v32, vcc_lo
	v_and_or_b32 v32, 0x8000, v80, v34
	v_cmp_ne_u32_e32 vcc_lo, 0, v79
	v_lshl_or_b32 v31, v38, 16, v1
	ds_read2_b32 v[1:2], v47 offset0:90 offset1:99
	v_and_or_b32 v16, 0x8000, v35, v16
	v_and_b32_e32 v30, 0xffff, v32
	v_and_b32_e32 v29, 0xffff, v29
	v_and_b32_e32 v16, 0xffff, v16
	v_lshl_or_b32 v30, v36, 16, v30
	v_lshl_or_b32 v29, v39, 16, v29
	;; [unrolled: 1-line block ×3, first 2 shown]
	v_cndmask_b32_e64 v16, 0, 1, vcc_lo
	v_cmp_gt_i32_e32 vcc_lo, 31, v84
	global_store_dword v[14:15], v30, off
	v_lshrrev_b32_e32 v14, 8, v19
	v_bfe_u32 v15, v19, 20, 11
	global_store_dword v[10:11], v27, off
	v_mul_f64 v[10:11], v[24:25], s[26:27]
	v_cndmask_b32_e32 v24, 0x7c00, v51, vcc_lo
	v_cmp_gt_i32_e32 vcc_lo, 1, v50
	v_and_or_b32 v18, 0xffe, v14, v18
	v_sub_nc_u32_e32 v14, 0x3f1, v15
	v_lshl_or_b32 v16, v16, 9, 0x7c00
	global_store_dword v[20:21], v28, off
	v_cndmask_b32_e32 v25, v61, v69, vcc_lo
	v_or_b32_e32 v27, 0x1000, v18
	v_med3_i32 v14, v14, 0, 13
	v_cmp_eq_u32_e32 vcc_lo, 0x40f, v84
	global_store_dword v[22:23], v31, off
	v_and_b32_e32 v20, 7, v25
	s_waitcnt lgkmcnt(0)
	v_lshrrev_b32_e32 v22, 16, v1
	v_lshrrev_b32_e32 v21, v14, v27
	v_cndmask_b32_e32 v16, v24, v16, vcc_lo
	v_lshrrev_b32_e32 v23, 2, v25
	v_cmp_lt_i32_e32 vcc_lo, 5, v20
	v_cmp_eq_u32_e64 s0, 3, v20
	v_lshlrev_b32_e32 v14, v14, v21
	v_mul_f16_sdwa v20, v46, v22 dst_sel:DWORD dst_unused:UNUSED_PAD src0_sel:WORD_1 src1_sel:DWORD
	v_add_nc_u32_e32 v24, 0xfffffc10, v15
	v_and_or_b32 v10, 0x1ff, v11, v10
	s_or_b32 vcc_lo, s0, vcc_lo
	v_bfe_u32 v25, v11, 20, 11
	v_add_co_ci_u32_e32 v23, vcc_lo, 0, v23, vcc_lo
	v_cmp_ne_u32_e32 vcc_lo, v14, v27
	v_fmac_f16_e32 v20, v46, v1
	v_lshl_or_b32 v27, v24, 12, v18
	v_mul_f16_sdwa v1, v46, v1 dst_sel:DWORD dst_unused:UNUSED_PAD src0_sel:WORD_1 src1_sel:DWORD
	v_and_or_b32 v30, 0x8000, v17, v16
	v_cndmask_b32_e64 v14, 0, 1, vcc_lo
	v_cmp_ne_u32_e32 vcc_lo, 0, v10
	v_cvt_f32_f16_e32 v15, v20
	v_lshrrev_b32_e32 v20, 8, v11
	v_fma_f16 v1, v46, v22, -v1
	v_or_b32_e32 v21, v21, v14
	v_cndmask_b32_e64 v10, 0, 1, vcc_lo
	v_cmp_ne_u32_e32 vcc_lo, 0, v8
	v_cvt_f64_f32_e32 v[14:15], v15
	v_cvt_f32_f16_e32 v1, v1
	global_store_dword v[12:13], v29, off
	global_store_dword v[5:6], v26, off
	v_and_or_b32 v10, 0xffe, v20, v10
	v_cndmask_b32_e64 v8, 0, 1, vcc_lo
	v_cmp_gt_i32_e32 vcc_lo, 1, v24
	v_sub_nc_u32_e32 v20, 0x3f1, v25
	v_cvt_f64_f32_e32 v[16:17], v1
	v_lshrrev_b32_e32 v1, 16, v9
	v_lshl_or_b32 v8, v8, 9, 0x7c00
	v_cndmask_b32_e32 v21, v27, v21, vcc_lo
	v_cmp_gt_i32_e32 vcc_lo, 31, v50
	v_or_b32_e32 v27, 0x1000, v10
	v_med3_i32 v20, v20, 0, 13
	v_lshrrev_b32_e32 v11, 16, v11
	v_and_b32_e32 v22, 7, v21
	v_cndmask_b32_e32 v23, 0x7c00, v23, vcc_lo
	v_cmp_eq_u32_e32 vcc_lo, 0x40f, v50
	v_lshrrev_b32_e32 v28, v20, v27
	v_lshrrev_b32_e32 v9, 2, v21
	v_cmp_eq_u32_e64 s0, 3, v22
	v_add_nc_u32_e32 v21, 0xfffffc10, v25
	v_cndmask_b32_e32 v8, v23, v8, vcc_lo
	v_cmp_lt_i32_e32 vcc_lo, 5, v22
	v_lshlrev_b32_e32 v20, v20, v28
	v_mul_f64 v[14:15], v[14:15], s[26:27]
	v_lshl_or_b32 v22, v21, 12, v10
	v_and_or_b32 v1, 0x8000, v1, v8
	s_or_b32 vcc_lo, s0, vcc_lo
	v_cmp_ne_u32_e64 s1, v20, v27
	v_add_co_ci_u32_e32 v9, vcc_lo, 0, v9, vcc_lo
	v_cmp_ne_u32_e32 vcc_lo, 0, v18
	v_cndmask_b32_e64 v20, 0, 1, s1
	v_cndmask_b32_e64 v18, 0, 1, vcc_lo
	v_cmp_gt_i32_e32 vcc_lo, 31, v24
	v_or_b32_e32 v20, v28, v20
	v_lshl_or_b32 v18, v18, 9, 0x7c00
	v_cndmask_b32_e32 v23, 0x7c00, v9, vcc_lo
	v_cmp_gt_i32_e32 vcc_lo, 1, v21
	v_mul_f64 v[8:9], v[16:17], s[26:27]
	v_lshrrev_b32_e32 v17, 16, v19
	v_and_or_b32 v14, 0x1ff, v15, v14
	v_lshrrev_b32_e32 v13, 8, v15
	v_cndmask_b32_e32 v20, v22, v20, vcc_lo
	v_cmp_eq_u32_e32 vcc_lo, 0x40f, v24
	v_and_b32_e32 v22, 0xffff, v30
	v_cmp_ne_u32_e64 s1, 0, v14
	v_bfe_u32 v14, v15, 20, 11
	v_and_b32_e32 v25, 7, v20
	v_cndmask_b32_e32 v16, v23, v18, vcc_lo
	v_lshrrev_b32_e32 v18, 16, v7
	v_cndmask_b32_e64 v12, 0, 1, s1
	v_lshl_or_b32 v1, v1, 16, v22
	v_cmp_lt_i32_e32 vcc_lo, 5, v25
	v_cmp_eq_u32_e64 s0, 3, v25
	v_and_or_b32 v16, 0x8000, v17, v16
	v_lshrrev_b32_e32 v17, 2, v20
	v_and_or_b32 v19, 0xffe, v13, v12
	v_sub_nc_u32_e32 v12, 0x3f1, v14
	s_or_b32 vcc_lo, s0, vcc_lo
	v_mul_f16_sdwa v13, v45, v18 dst_sel:DWORD dst_unused:UNUSED_PAD src0_sel:WORD_1 src1_sel:DWORD
	v_add_co_ci_u32_e32 v17, vcc_lo, 0, v17, vcc_lo
	v_cmp_ne_u32_e32 vcc_lo, 0, v10
	v_or_b32_e32 v20, 0x1000, v19
	v_med3_i32 v23, v12, 0, 13
	v_and_or_b32 v8, 0x1ff, v9, v8
	v_fmac_f16_e32 v13, v45, v7
	v_cndmask_b32_e64 v10, 0, 1, vcc_lo
	v_cmp_gt_i32_e32 vcc_lo, 31, v21
	v_lshrrev_b32_e32 v24, v23, v20
	v_lshrrev_b32_e32 v25, 8, v9
	v_cvt_f32_f16_e32 v12, v13
	v_lshl_or_b32 v10, v10, 9, 0x7c00
	v_cndmask_b32_e32 v17, 0x7c00, v17, vcc_lo
	v_cmp_ne_u32_e32 vcc_lo, 0, v8
	v_bfe_u32 v26, v9, 20, 11
	v_lshlrev_b32_e32 v23, v23, v24
	v_cvt_f64_f32_e32 v[12:13], v12
	v_add_nc_u32_e32 v14, 0xfffffc10, v14
	v_cndmask_b32_e64 v8, 0, 1, vcc_lo
	v_cmp_eq_u32_e32 vcc_lo, 0x40f, v21
	v_and_b32_e32 v16, 0xffff, v16
	v_lshrrev_b32_e32 v9, 16, v9
	v_cndmask_b32_e32 v10, v17, v10, vcc_lo
	v_and_or_b32 v17, 0xffe, v25, v8
	v_sub_nc_u32_e32 v8, 0x3f1, v26
	v_cmp_ne_u32_e32 vcc_lo, v23, v20
	v_lshl_or_b32 v23, v14, 12, v19
	v_and_or_b32 v22, 0x8000, v11, v10
	v_or_b32_e32 v21, 0x1000, v17
	v_med3_i32 v8, v8, 0, 13
	v_cndmask_b32_e64 v20, 0, 1, vcc_lo
	v_cmp_gt_i32_e32 vcc_lo, 1, v14
	v_mul_f16_sdwa v10, v45, v7 dst_sel:DWORD dst_unused:UNUSED_PAD src0_sel:WORD_1 src1_sel:DWORD
	v_lshl_or_b32 v16, v22, 16, v16
	v_lshrrev_b32_e32 v25, 16, v4
	v_or_b32_e32 v20, v24, v20
	v_lshrrev_b32_e32 v24, v8, v21
	v_fma_f16 v10, v45, v18, -v10
	v_add_nc_u32_e32 v18, 0xfffffc10, v26
	v_cndmask_b32_e32 v20, v23, v20, vcc_lo
	v_lshlrev_b32_e32 v11, v8, v24
	v_mul_f64 v[7:8], v[12:13], s[26:27]
	v_add_co_u32 v5, vcc_lo, v5, s30
	v_and_b32_e32 v12, 7, v20
	v_cmp_ne_u32_e64 s0, v11, v21
	v_add_co_ci_u32_e32 v6, vcc_lo, s29, v6, vcc_lo
	v_cvt_f32_f16_e32 v10, v10
	v_cmp_lt_i32_e32 vcc_lo, 5, v12
	v_cndmask_b32_e64 v13, 0, 1, s0
	v_cmp_eq_u32_e64 s0, 3, v12
	v_lshrrev_b32_e32 v12, 2, v20
	v_cvt_f64_f32_e32 v[10:11], v10
	v_lshl_or_b32 v20, v18, 12, v17
	v_or_b32_e32 v13, v24, v13
	s_or_b32 vcc_lo, s0, vcc_lo
	global_store_dword v[5:6], v1, off
	v_add_co_ci_u32_e32 v21, vcc_lo, 0, v12, vcc_lo
	v_cmp_ne_u32_e32 vcc_lo, 0, v19
	v_and_or_b32 v7, 0x1ff, v8, v7
	v_lshrrev_b32_e32 v23, 8, v8
	v_cndmask_b32_e64 v19, 0, 1, vcc_lo
	v_cmp_gt_i32_e32 vcc_lo, 1, v18
	v_bfe_u32 v24, v8, 20, 11
	v_lshrrev_b32_e32 v8, 16, v8
	v_lshl_or_b32 v19, v19, 9, 0x7c00
	v_cndmask_b32_e32 v20, v20, v13, vcc_lo
	v_add_co_u32 v12, vcc_lo, v5, s30
	v_add_co_ci_u32_e32 v13, vcc_lo, s29, v6, vcc_lo
	v_cmp_gt_i32_e32 vcc_lo, 31, v14
	v_mul_f64 v[10:11], v[10:11], s[26:27]
	v_and_b32_e32 v22, 7, v20
	global_store_dword v[12:13], v16, off
	v_cndmask_b32_e32 v21, 0x7c00, v21, vcc_lo
	v_cmp_ne_u32_e32 vcc_lo, 0, v7
	v_cmp_eq_u32_e64 s0, 3, v22
	v_cndmask_b32_e64 v7, 0, 1, vcc_lo
	v_cmp_eq_u32_e32 vcc_lo, 0x40f, v14
	v_sub_nc_u32_e32 v14, 0x3f1, v24
	v_and_or_b32 v23, 0xffe, v23, v7
	v_cndmask_b32_e32 v19, v21, v19, vcc_lo
	v_cmp_lt_i32_e32 vcc_lo, 5, v22
	v_mul_f16_sdwa v7, v44, v25 dst_sel:DWORD dst_unused:UNUSED_PAD src0_sel:WORD_1 src1_sel:DWORD
	v_lshrrev_b32_e32 v21, 16, v15
	v_lshrrev_b32_e32 v15, 2, v20
	v_or_b32_e32 v20, 0x1000, v23
	s_or_b32 vcc_lo, s0, vcc_lo
	v_fmac_f16_e32 v7, v44, v4
	v_med3_i32 v22, v14, 0, 13
	v_add_co_ci_u32_e32 v26, vcc_lo, 0, v15, vcc_lo
	v_cmp_ne_u32_e32 vcc_lo, 0, v17
	v_cvt_f32_f16_e32 v7, v7
	v_and_or_b32 v10, 0x1ff, v11, v10
	v_lshrrev_b32_e32 v27, v22, v20
	v_and_or_b32 v19, 0x8000, v21, v19
	v_cndmask_b32_e64 v17, 0, 1, vcc_lo
	v_cmp_gt_i32_e32 vcc_lo, 31, v18
	v_cvt_f64_f32_e32 v[14:15], v7
	v_lshlrev_b32_e32 v22, v22, v27
	v_lshrrev_b32_e32 v21, 8, v11
	v_lshl_or_b32 v17, v17, 9, 0x7c00
	v_cndmask_b32_e32 v7, 0x7c00, v26, vcc_lo
	v_cmp_ne_u32_e32 vcc_lo, 0, v10
	v_bfe_u32 v26, v11, 20, 11
	v_mul_f16_sdwa v4, v44, v4 dst_sel:DWORD dst_unused:UNUSED_PAD src0_sel:WORD_1 src1_sel:DWORD
	v_lshrrev_b32_e32 v11, 16, v11
	v_cndmask_b32_e64 v10, 0, 1, vcc_lo
	v_cmp_eq_u32_e32 vcc_lo, 0x40f, v18
	v_add_nc_u32_e32 v18, 0xfffffc10, v24
	v_fma_f16 v4, v44, v25, -v4
	v_cndmask_b32_e32 v7, v7, v17, vcc_lo
	v_cmp_ne_u32_e32 vcc_lo, v22, v20
	v_and_or_b32 v20, 0xffe, v21, v10
	v_sub_nc_u32_e32 v10, 0x3f1, v26
	v_lshl_or_b32 v21, v18, 12, v23
	v_and_or_b32 v7, 0x8000, v9, v7
	v_cndmask_b32_e64 v17, 0, 1, vcc_lo
	v_or_b32_e32 v22, 0x1000, v20
	v_med3_i32 v24, v10, 0, 13
	v_mul_f64 v[9:10], v[14:15], s[26:27]
	v_cmp_gt_i32_e32 vcc_lo, 1, v18
	v_or_b32_e32 v17, v27, v17
	v_and_b32_e32 v14, 0xffff, v19
	v_lshrrev_b32_e32 v15, v24, v22
	v_cndmask_b32_e32 v17, v21, v17, vcc_lo
	v_lshl_or_b32 v1, v7, 16, v14
	v_lshlrev_b32_e32 v6, v24, v15
	v_cvt_f32_f16_e32 v7, v4
	v_add_co_u32 v4, vcc_lo, v12, s30
	v_and_b32_e32 v14, 7, v17
	v_cmp_ne_u32_e64 s0, v6, v22
	v_add_co_ci_u32_e32 v5, vcc_lo, s29, v13, vcc_lo
	v_add_nc_u32_e32 v21, 0xfffffc10, v26
	v_cmp_lt_i32_e32 vcc_lo, 5, v14
	v_cndmask_b32_e64 v19, 0, 1, s0
	v_cmp_eq_u32_e64 s0, 3, v14
	v_lshrrev_b32_e32 v14, 2, v17
	v_and_or_b32 v9, 0x1ff, v10, v9
	v_lshl_or_b32 v17, v21, 12, v20
	v_or_b32_e32 v15, v15, v19
	s_or_b32 vcc_lo, s0, vcc_lo
	v_cvt_f64_f32_e32 v[6:7], v7
	v_add_co_ci_u32_e32 v14, vcc_lo, 0, v14, vcc_lo
	v_cmp_gt_i32_e32 vcc_lo, 1, v21
	v_bfe_u32 v19, v10, 20, 11
	global_store_dword v[4:5], v1, off
	v_mul_f16_sdwa v1, v43, v3 dst_sel:DWORD dst_unused:UNUSED_PAD src0_sel:WORD_1 src1_sel:DWORD
	v_add_co_u32 v4, s1, v4, s30
	v_cndmask_b32_e32 v15, v17, v15, vcc_lo
	v_cmp_ne_u32_e32 vcc_lo, 0, v9
	v_lshrrev_b32_e32 v17, 8, v10
	v_add_co_ci_u32_e64 v5, s1, s29, v5, s1
	v_and_b32_e32 v24, 7, v15
	v_cndmask_b32_e64 v9, 0, 1, vcc_lo
	v_cmp_ne_u32_e32 vcc_lo, 0, v23
	v_lshrrev_b32_e32 v23, 16, v3
	v_cmp_eq_u32_e64 s0, 3, v24
	v_and_or_b32 v17, 0xffe, v17, v9
	v_cndmask_b32_e64 v22, 0, 1, vcc_lo
	v_cmp_gt_i32_e32 vcc_lo, 31, v18
	v_mul_f16_sdwa v25, v43, v23 dst_sel:DWORD dst_unused:UNUSED_PAD src0_sel:WORD_1 src1_sel:DWORD
	v_sub_nc_u32_e32 v9, 0x3f1, v19
	v_mul_f64 v[6:7], v[6:7], s[26:27]
	v_or_b32_e32 v27, 0x1000, v17
	v_cndmask_b32_e32 v26, 0x7c00, v14, vcc_lo
	v_cmp_lt_i32_e32 vcc_lo, 5, v24
	v_fmac_f16_e32 v25, v43, v3
	v_lshrrev_b32_e32 v14, 2, v15
	v_med3_i32 v9, v9, 0, 13
	v_lshl_or_b32 v22, v22, 9, 0x7c00
	s_or_b32 vcc_lo, s0, vcc_lo
	v_cvt_f32_f16_e32 v15, v25
	v_add_co_ci_u32_e32 v25, vcc_lo, 0, v14, vcc_lo
	v_cmp_ne_u32_e32 vcc_lo, 0, v20
	v_lshrrev_b32_e32 v24, v9, v27
	v_cvt_f64_f32_e32 v[14:15], v15
	v_add_nc_u32_e32 v19, 0xfffffc10, v19
	v_fma_f16 v1, v43, v23, -v1
	v_cndmask_b32_e64 v20, 0, 1, vcc_lo
	v_cmp_gt_i32_e32 vcc_lo, 31, v21
	v_lshlrev_b32_e32 v9, v9, v24
	v_cvt_f32_f16_e32 v1, v1
	v_and_or_b32 v6, 0x1ff, v7, v6
	v_cndmask_b32_e32 v25, 0x7c00, v25, vcc_lo
	v_cmp_eq_u32_e32 vcc_lo, 0x40f, v18
	v_lshl_or_b32 v20, v20, 9, 0x7c00
	v_cndmask_b32_e32 v18, v26, v22, vcc_lo
	v_cmp_ne_u32_e32 vcc_lo, v9, v27
	v_bfe_u32 v22, v7, 20, 11
	v_and_or_b32 v18, 0x8000, v8, v18
	v_cndmask_b32_e64 v9, 0, 1, vcc_lo
	v_cmp_eq_u32_e32 vcc_lo, 0x40f, v21
	v_lshrrev_b32_e32 v21, 8, v7
	v_and_b32_e32 v18, 0xffff, v18
	v_or_b32_e32 v24, v24, v9
	v_cndmask_b32_e32 v20, v25, v20, vcc_lo
	v_cmp_ne_u32_e32 vcc_lo, 0, v6
	v_lshl_or_b32 v25, v19, 12, v17
	v_mul_f64 v[8:9], v[14:15], s[26:27]
	v_and_or_b32 v11, 0x8000, v11, v20
	v_cndmask_b32_e64 v6, 0, 1, vcc_lo
	v_cmp_gt_i32_e32 vcc_lo, 1, v19
	v_lshl_or_b32 v16, v11, 16, v18
	v_and_or_b32 v6, 0xffe, v21, v6
	v_sub_nc_u32_e32 v21, 0x3f1, v22
	v_cndmask_b32_e32 v14, v25, v24, vcc_lo
	v_cvt_f64_f32_e32 v[11:12], v1
	global_store_dword v[4:5], v16, off
	v_or_b32_e32 v15, 0x1000, v6
	v_med3_i32 v21, v21, 0, 13
	v_and_b32_e32 v20, 7, v14
	v_lshrrev_b32_e32 v14, 2, v14
	v_lshrrev_b32_e32 v13, v21, v15
	v_cmp_lt_i32_e32 vcc_lo, 5, v20
	v_cmp_eq_u32_e64 s0, 3, v20
	v_and_or_b32 v8, 0x1ff, v9, v8
	v_bfe_u32 v18, v9, 20, 11
	v_lshlrev_b32_e32 v3, v21, v13
	v_lshrrev_b32_e32 v20, 16, v0
	s_or_b32 vcc_lo, s0, vcc_lo
	v_add_co_ci_u32_e32 v1, vcc_lo, 0, v14, vcc_lo
	v_cmp_ne_u32_e64 s1, v3, v15
	v_cmp_ne_u32_e32 vcc_lo, 0, v17
	v_add_nc_u32_e32 v15, 0xfffffc10, v22
	v_lshrrev_b32_e32 v17, 8, v9
	v_mul_f16_sdwa v21, v42, v20 dst_sel:DWORD dst_unused:UNUSED_PAD src0_sel:WORD_1 src1_sel:DWORD
	v_cndmask_b32_e64 v3, 0, 1, s1
	v_cndmask_b32_e64 v14, 0, 1, vcc_lo
	v_cmp_ne_u32_e32 vcc_lo, 0, v8
	v_mul_f64 v[11:12], v[11:12], s[26:27]
	v_fmac_f16_e32 v21, v42, v0
	v_or_b32_e32 v3, v13, v3
	v_lshl_or_b32 v13, v15, 12, v6
	v_cndmask_b32_e64 v8, 0, 1, vcc_lo
	v_cmp_gt_i32_e32 vcc_lo, 1, v15
	v_cvt_f32_f16_e32 v21, v21
	v_lshl_or_b32 v24, v14, 9, 0x7c00
	v_cmp_eq_u32_e64 s1, 0x40f, v19
	v_and_or_b32 v8, 0xffe, v17, v8
	v_cndmask_b32_e32 v3, v13, v3, vcc_lo
	v_sub_nc_u32_e32 v17, 0x3f1, v18
	v_cmp_gt_i32_e32 vcc_lo, 31, v19
	v_lshrrev_b32_e32 v19, 16, v10
	v_or_b32_e32 v22, 0x1000, v8
	v_and_b32_e32 v13, 7, v3
	v_med3_i32 v17, v17, 0, 13
	v_cndmask_b32_e32 v1, 0x7c00, v1, vcc_lo
	v_lshrrev_b32_e32 v3, 2, v3
	v_mul_f16_sdwa v0, v42, v0 dst_sel:DWORD dst_unused:UNUSED_PAD src0_sel:WORD_1 src1_sel:DWORD
	v_cmp_lt_i32_e32 vcc_lo, 5, v13
	v_cmp_eq_u32_e64 s0, 3, v13
	v_lshrrev_b32_e32 v23, v17, v22
	v_cvt_f64_f32_e32 v[13:14], v21
	v_cndmask_b32_e64 v1, v1, v24, s1
	v_fma_f16 v0, v42, v20, -v0
	s_or_b32 vcc_lo, s0, vcc_lo
	v_lshlrev_b32_e32 v17, v17, v23
	v_add_co_ci_u32_e32 v3, vcc_lo, 0, v3, vcc_lo
	v_cmp_ne_u32_e32 vcc_lo, 0, v6
	v_and_or_b32 v1, 0x8000, v19, v1
	v_cvt_f32_f16_e32 v0, v0
	v_lshrrev_b32_e32 v9, 16, v9
	v_cndmask_b32_e64 v6, 0, 1, vcc_lo
	v_cmp_ne_u32_e32 vcc_lo, v17, v22
	v_add_nc_u32_e32 v17, 0xfffffc10, v18
	v_and_or_b32 v18, 0x1ff, v12, v11
	v_lshl_or_b32 v6, v6, 9, 0x7c00
	v_cndmask_b32_e64 v10, 0, 1, vcc_lo
	v_cmp_gt_i32_e32 vcc_lo, 31, v15
	v_lshl_or_b32 v22, v17, 12, v8
	v_or_b32_e32 v21, v23, v10
	v_cndmask_b32_e32 v3, 0x7c00, v3, vcc_lo
	v_cmp_eq_u32_e32 vcc_lo, 0x40f, v15
	v_mul_f64 v[10:11], v[13:14], s[26:27]
	v_lshrrev_b32_e32 v14, 8, v12
	v_bfe_u32 v15, v12, 20, 11
	v_lshrrev_b32_e32 v12, 16, v12
	v_cndmask_b32_e32 v3, v3, v6, vcc_lo
	v_cmp_gt_i32_e32 vcc_lo, 1, v17
	v_lshrrev_b32_e32 v6, 16, v7
	v_cndmask_b32_e32 v7, v22, v21, vcc_lo
	v_cmp_ne_u32_e32 vcc_lo, 0, v18
	v_and_or_b32 v3, 0x8000, v6, v3
	v_lshrrev_b32_e32 v22, 16, v2
	v_and_b32_e32 v18, 7, v7
	v_cndmask_b32_e64 v13, 0, 1, vcc_lo
	v_lshrrev_b32_e32 v7, 2, v7
	v_cmp_lt_i32_e32 vcc_lo, 5, v18
	v_and_or_b32 v13, 0xffe, v14, v13
	v_sub_nc_u32_e32 v14, 0x3f1, v15
	v_cmp_eq_u32_e64 s0, 3, v18
	v_and_or_b32 v10, 0x1ff, v11, v10
	v_and_b32_e32 v18, 0xffff, v1
	v_or_b32_e32 v6, 0x1000, v13
	v_med3_i32 v14, v14, 0, 13
	s_or_b32 vcc_lo, s0, vcc_lo
	v_cvt_f64_f32_e32 v[0:1], v0
	v_add_co_ci_u32_e32 v7, vcc_lo, 0, v7, vcc_lo
	v_lshrrev_b32_e32 v19, v14, v6
	v_cmp_gt_i32_e32 vcc_lo, 31, v17
	v_lshl_or_b32 v3, v3, 16, v18
	v_bfe_u32 v18, v11, 20, 11
	v_lshlrev_b32_e32 v14, v14, v19
	v_cndmask_b32_e32 v16, 0x7c00, v7, vcc_lo
	v_cmp_ne_u32_e32 vcc_lo, 0, v10
	v_lshrrev_b32_e32 v10, 8, v11
	v_cndmask_b32_e64 v7, 0, 1, vcc_lo
	v_cmp_ne_u32_e32 vcc_lo, v14, v6
	v_add_nc_u32_e32 v14, 0xfffffc10, v15
	v_and_or_b32 v10, 0xffe, v10, v7
	v_cndmask_b32_e64 v6, 0, 1, vcc_lo
	v_cmp_ne_u32_e32 vcc_lo, 0, v8
	v_sub_nc_u32_e32 v7, 0x3f1, v18
	v_lshl_or_b32 v21, v14, 12, v13
	v_or_b32_e32 v15, v19, v6
	v_cndmask_b32_e64 v8, 0, 1, vcc_lo
	v_cmp_gt_i32_e32 vcc_lo, 1, v14
	v_or_b32_e32 v19, 0x1000, v10
	v_med3_i32 v20, v7, 0, 13
	v_mul_f64 v[6:7], v[0:1], s[26:27]
	v_lshl_or_b32 v8, v8, 9, 0x7c00
	v_cndmask_b32_e32 v15, v21, v15, vcc_lo
	v_mul_f16_sdwa v21, v41, v22 dst_sel:DWORD dst_unused:UNUSED_PAD src0_sel:WORD_1 src1_sel:DWORD
	v_lshrrev_b32_e32 v23, v20, v19
	v_mad_u64_u32 v[0:1], null, 0xfffffe74, s28, v[4:5]
	v_and_b32_e32 v5, 7, v15
	v_cmp_eq_u32_e32 vcc_lo, 0x40f, v17
	v_lshlrev_b32_e32 v4, v20, v23
	v_fmac_f16_e32 v21, v41, v2
	v_lshrrev_b32_e32 v15, 2, v15
	v_cmp_eq_u32_e64 s0, 3, v5
	v_cndmask_b32_e32 v8, v16, v8, vcc_lo
	v_cmp_lt_i32_e32 vcc_lo, 5, v5
	v_cmp_ne_u32_e64 s1, v4, v19
	v_cvt_f32_f16_e32 v5, v21
	v_add_nc_u32_e32 v17, 0xfffffc10, v18
	v_and_or_b32 v8, 0x8000, v9, v8
	s_or_b32 vcc_lo, s0, vcc_lo
	v_cndmask_b32_e64 v16, 0, 1, s1
	v_add_co_ci_u32_e32 v15, vcc_lo, 0, v15, vcc_lo
	v_cmp_ne_u32_e32 vcc_lo, 0, v13
	v_cvt_f64_f32_e32 v[4:5], v5
	v_and_or_b32 v6, 0x1ff, v7, v6
	v_or_b32_e32 v16, v23, v16
	v_lshl_or_b32 v18, v17, 12, v10
	v_cndmask_b32_e64 v13, 0, 1, vcc_lo
	v_cmp_gt_i32_e32 vcc_lo, 1, v17
	v_bfe_u32 v19, v7, 20, 11
	v_mul_f16_sdwa v2, v41, v2 dst_sel:DWORD dst_unused:UNUSED_PAD src0_sel:WORD_1 src1_sel:DWORD
	v_and_b32_e32 v8, 0xffff, v8
	v_lshl_or_b32 v13, v13, 9, 0x7c00
	v_cndmask_b32_e32 v16, v18, v16, vcc_lo
	v_cmp_ne_u32_e32 vcc_lo, 0, v6
	v_lshrrev_b32_e32 v18, 8, v7
	v_fma_f16 v2, v41, v22, -v2
	v_add_nc_u32_e32 v1, s31, v1
	v_and_b32_e32 v20, 7, v16
	v_cndmask_b32_e64 v6, 0, 1, vcc_lo
	v_cmp_gt_i32_e32 vcc_lo, 31, v14
	v_cvt_f32_f16_e32 v2, v2
	v_cmp_eq_u32_e64 s0, 3, v20
	v_and_or_b32 v6, 0xffe, v18, v6
	v_cndmask_b32_e32 v15, 0x7c00, v15, vcc_lo
	v_cmp_eq_u32_e32 vcc_lo, 0x40f, v14
	v_sub_nc_u32_e32 v18, 0x3f1, v19
	v_mul_f64 v[4:5], v[4:5], s[26:27]
	v_or_b32_e32 v14, 0x1000, v6
	v_add_nc_u32_e32 v19, 0xfffffc10, v19
	v_cndmask_b32_e32 v13, v15, v13, vcc_lo
	v_med3_i32 v15, v18, 0, 13
	v_cmp_lt_i32_e32 vcc_lo, 5, v20
	v_and_or_b32 v9, 0x8000, v12, v13
	v_lshrrev_b32_e32 v13, 2, v16
	v_lshrrev_b32_e32 v12, v15, v14
	s_or_b32 vcc_lo, s0, vcc_lo
	ds_read_b32 v16, v47 offset:504
	v_lshl_or_b32 v18, v9, 16, v8
	v_add_co_ci_u32_e32 v13, vcc_lo, 0, v13, vcc_lo
	v_lshlrev_b32_e32 v15, v15, v12
	v_cmp_ne_u32_e32 vcc_lo, 0, v10
	v_cvt_f64_f32_e32 v[8:9], v2
	v_cndmask_b32_e64 v10, 0, 1, vcc_lo
	v_cmp_ne_u32_e32 vcc_lo, v15, v14
	v_and_or_b32 v4, 0x1ff, v5, v4
	v_lshrrev_b32_e32 v15, 8, v5
	v_bfe_u32 v20, v5, 20, 11
	v_lshl_or_b32 v10, v10, 9, 0x7c00
	v_cndmask_b32_e64 v14, 0, 1, vcc_lo
	v_cmp_gt_i32_e32 vcc_lo, 31, v17
	v_lshrrev_b32_e32 v5, 16, v5
	v_or_b32_e32 v12, v12, v14
	v_cndmask_b32_e32 v13, 0x7c00, v13, vcc_lo
	v_cmp_ne_u32_e32 vcc_lo, 0, v4
	v_lshl_or_b32 v14, v19, 12, v6
	s_waitcnt lgkmcnt(0)
	v_lshrrev_b32_e32 v4, 16, v16
	v_cndmask_b32_e64 v2, 0, 1, vcc_lo
	v_cmp_gt_i32_e32 vcc_lo, 1, v19
	v_mul_f16_sdwa v21, v40, v4 dst_sel:DWORD dst_unused:UNUSED_PAD src0_sel:WORD_1 src1_sel:DWORD
	v_mul_f64 v[8:9], v[8:9], s[26:27]
	v_and_or_b32 v2, 0xffe, v15, v2
	v_sub_nc_u32_e32 v15, 0x3f1, v20
	v_cndmask_b32_e32 v14, v14, v12, vcc_lo
	v_cmp_eq_u32_e32 vcc_lo, 0x40f, v17
	v_fmac_f16_e32 v21, v40, v16
	v_or_b32_e32 v22, 0x1000, v2
	v_med3_i32 v15, v15, 0, 13
	v_and_b32_e32 v23, 7, v14
	v_cndmask_b32_e32 v17, v13, v10, vcc_lo
	v_cvt_f32_f16_e32 v12, v21
	v_lshrrev_b32_e32 v21, 16, v11
	v_lshrrev_b32_e32 v10, v15, v22
	v_cmp_lt_i32_e32 vcc_lo, 5, v23
	v_cmp_eq_u32_e64 s0, 3, v23
	v_lshrrev_b32_e32 v11, 2, v14
	v_cvt_f64_f32_e32 v[12:13], v12
	v_lshlrev_b32_e32 v14, v15, v10
	v_mul_f16_sdwa v16, v40, v16 dst_sel:DWORD dst_unused:UNUSED_PAD src0_sel:WORD_1 src1_sel:DWORD
	s_or_b32 vcc_lo, s0, vcc_lo
	v_and_or_b32 v17, 0x8000, v21, v17
	v_add_co_ci_u32_e32 v15, vcc_lo, 0, v11, vcc_lo
	v_cmp_ne_u32_e32 vcc_lo, v14, v22
	v_fma_f16 v4, v40, v4, -v16
	v_add_nc_u32_e32 v16, 0xfffffc10, v20
	v_and_or_b32 v8, 0x1ff, v9, v8
	v_and_b32_e32 v17, 0xffff, v17
	v_cndmask_b32_e64 v11, 0, 1, vcc_lo
	v_cmp_ne_u32_e32 vcc_lo, 0, v6
	v_cvt_f32_f16_e32 v4, v4
	v_lshl_or_b32 v22, v16, 12, v2
	v_or_b32_e32 v20, v10, v11
	v_cndmask_b32_e64 v6, 0, 1, vcc_lo
	v_cmp_gt_i32_e32 vcc_lo, 31, v19
	v_cvt_f64_f32_e32 v[10:11], v4
	v_mul_f64 v[12:13], v[12:13], s[26:27]
	v_lshl_or_b32 v6, v6, 9, 0x7c00
	v_cndmask_b32_e32 v4, 0x7c00, v15, vcc_lo
	v_add_co_u32 v14, vcc_lo, v0, s30
	v_add_co_ci_u32_e32 v15, vcc_lo, s29, v1, vcc_lo
	v_cmp_gt_i32_e32 vcc_lo, 1, v16
	v_cndmask_b32_e32 v20, v22, v20, vcc_lo
	v_cmp_eq_u32_e32 vcc_lo, 0x40f, v19
	v_bfe_u32 v19, v9, 20, 11
	v_lshrrev_b32_e32 v22, 16, v7
	v_and_b32_e32 v23, 7, v20
	v_cndmask_b32_e32 v4, v4, v6, vcc_lo
	v_cmp_ne_u32_e32 vcc_lo, 0, v8
	v_lshrrev_b32_e32 v8, 8, v9
	v_sub_nc_u32_e32 v21, 0x3f1, v19
	v_cmp_eq_u32_e64 s0, 3, v23
	v_lshrrev_b32_e32 v20, 2, v20
	v_cndmask_b32_e64 v6, 0, 1, vcc_lo
	v_cmp_lt_i32_e32 vcc_lo, 5, v23
	v_and_or_b32 v12, 0x1ff, v13, v12
	v_and_or_b32 v4, 0x8000, v22, v4
	v_lshrrev_b32_e32 v22, 8, v13
	v_and_or_b32 v8, 0xffe, v8, v6
	v_mul_f64 v[6:7], v[10:11], s[26:27]
	v_med3_i32 v11, v21, 0, 13
	s_or_b32 vcc_lo, s0, vcc_lo
	v_bfe_u32 v23, v13, 20, 11
	v_or_b32_e32 v10, 0x1000, v8
	v_add_co_ci_u32_e32 v20, vcc_lo, 0, v20, vcc_lo
	v_cmp_ne_u32_e32 vcc_lo, 0, v12
	v_lshrrev_b32_e32 v9, 16, v9
	v_lshrrev_b32_e32 v21, v11, v10
	v_cndmask_b32_e64 v12, 0, 1, vcc_lo
	v_cmp_ne_u32_e32 vcc_lo, 0, v2
	v_lshlrev_b32_e32 v11, v11, v21
	v_and_or_b32 v12, 0xffe, v22, v12
	v_cndmask_b32_e64 v2, 0, 1, vcc_lo
	v_cmp_ne_u32_e32 vcc_lo, v11, v10
	v_sub_nc_u32_e32 v22, 0x3f1, v23
	v_add_nc_u32_e32 v11, 0xfffffc10, v19
	v_and_or_b32 v6, 0x1ff, v7, v6
	v_or_b32_e32 v19, 0x1000, v12
	v_cndmask_b32_e64 v10, 0, 1, vcc_lo
	v_cmp_gt_i32_e32 vcc_lo, 31, v16
	v_med3_i32 v22, v22, 0, 13
	v_lshrrev_b32_e32 v24, 8, v7
	v_bfe_u32 v25, v7, 20, 11
	v_or_b32_e32 v10, v21, v10
	v_cndmask_b32_e32 v20, 0x7c00, v20, vcc_lo
	v_cmp_ne_u32_e32 vcc_lo, 0, v6
	v_lshl_or_b32 v21, v11, 12, v8
	v_lshrrev_b32_e32 v26, v22, v19
	v_lshl_or_b32 v2, v2, 9, 0x7c00
	v_lshrrev_b32_e32 v7, 16, v7
	v_cndmask_b32_e64 v6, 0, 1, vcc_lo
	v_cmp_gt_i32_e32 vcc_lo, 1, v11
	v_and_or_b32 v6, 0xffe, v24, v6
	v_sub_nc_u32_e32 v24, 0x3f1, v25
	v_cndmask_b32_e32 v10, v21, v10, vcc_lo
	v_lshlrev_b32_e32 v21, v22, v26
	v_cmp_eq_u32_e32 vcc_lo, 0x40f, v16
	v_or_b32_e32 v22, 0x1000, v6
	v_med3_i32 v24, v24, 0, 13
	v_and_b32_e32 v27, 7, v10
	v_lshrrev_b32_e32 v10, 2, v10
	v_cndmask_b32_e32 v2, v20, v2, vcc_lo
	v_cmp_ne_u32_e32 vcc_lo, v21, v19
	v_add_nc_u32_e32 v19, 0xfffffc10, v23
	v_lshrrev_b32_e32 v20, v24, v22
	v_cmp_eq_u32_e64 s0, 3, v27
	v_and_or_b32 v2, 0x8000, v5, v2
	v_cndmask_b32_e64 v16, 0, 1, vcc_lo
	v_lshl_or_b32 v21, v19, 12, v12
	v_lshlrev_b32_e32 v23, v24, v20
	v_cmp_gt_i32_e64 s1, 1, v19
	v_cmp_lt_i32_e32 vcc_lo, 5, v27
	v_or_b32_e32 v16, v26, v16
	v_and_b32_e32 v2, 0xffff, v2
	s_or_b32 vcc_lo, s0, vcc_lo
	v_cndmask_b32_e64 v16, v21, v16, s1
	v_cmp_ne_u32_e64 s1, v23, v22
	v_add_nc_u32_e32 v22, 0xfffffc10, v25
	v_add_co_ci_u32_e32 v10, vcc_lo, 0, v10, vcc_lo
	v_and_b32_e32 v23, 7, v16
	v_cndmask_b32_e64 v21, 0, 1, s1
	v_cmp_ne_u32_e32 vcc_lo, 0, v8
	v_cmp_gt_i32_e64 s0, 1, v22
	v_lshrrev_b32_e32 v16, 2, v16
	v_cmp_gt_i32_e64 s1, 31, v11
	v_or_b32_e32 v20, v20, v21
	v_lshl_or_b32 v21, v22, 12, v6
	v_cndmask_b32_e64 v8, 0, 1, vcc_lo
	v_cmp_lt_i32_e32 vcc_lo, 5, v23
	v_cndmask_b32_e64 v10, 0x7c00, v10, s1
	v_cmp_eq_u32_e64 s1, 0x40f, v11
	v_cndmask_b32_e64 v5, v21, v20, s0
	v_cmp_eq_u32_e64 s0, 3, v23
	v_lshl_or_b32 v8, v8, 9, 0x7c00
	v_and_b32_e32 v20, 7, v5
	s_or_b32 vcc_lo, s0, vcc_lo
	v_lshrrev_b32_e32 v5, 2, v5
	v_add_co_ci_u32_e32 v16, vcc_lo, 0, v16, vcc_lo
	v_cmp_ne_u32_e32 vcc_lo, 0, v12
	v_cmp_eq_u32_e64 s0, 3, v20
	v_cndmask_b32_e64 v8, v10, v8, s1
	v_cmp_gt_i32_e64 s1, 31, v19
	v_cndmask_b32_e64 v12, 0, 1, vcc_lo
	v_cmp_lt_i32_e32 vcc_lo, 5, v20
	v_and_or_b32 v8, 0x8000, v9, v8
	v_cndmask_b32_e64 v10, 0x7c00, v16, s1
	v_lshl_or_b32 v11, v12, 9, 0x7c00
	s_or_b32 vcc_lo, s0, vcc_lo
	v_lshl_or_b32 v12, v4, 16, v17
	v_add_co_ci_u32_e32 v5, vcc_lo, 0, v5, vcc_lo
	v_cmp_ne_u32_e32 vcc_lo, 0, v6
	v_lshl_or_b32 v2, v8, 16, v2
	v_cndmask_b32_e64 v6, 0, 1, vcc_lo
	v_cmp_eq_u32_e32 vcc_lo, 0x40f, v19
	v_lshl_or_b32 v6, v6, 9, 0x7c00
	v_cndmask_b32_e32 v10, v10, v11, vcc_lo
	v_cmp_gt_i32_e32 vcc_lo, 31, v22
	v_lshrrev_b32_e32 v11, 16, v13
	v_cndmask_b32_e32 v5, 0x7c00, v5, vcc_lo
	v_cmp_eq_u32_e32 vcc_lo, 0x40f, v22
	v_and_or_b32 v9, 0x8000, v11, v10
	v_cndmask_b32_e32 v6, v5, v6, vcc_lo
	v_add_co_u32 v4, vcc_lo, v14, s30
	v_add_co_ci_u32_e32 v5, vcc_lo, s29, v15, vcc_lo
	v_and_or_b32 v8, 0x8000, v7, v6
	v_and_b32_e32 v9, 0xffff, v9
	v_add_co_u32 v6, vcc_lo, v4, s30
	v_add_co_ci_u32_e32 v7, vcc_lo, s29, v5, vcc_lo
	v_lshl_or_b32 v10, v8, 16, v9
	v_add_co_u32 v8, vcc_lo, v6, s30
	v_add_co_ci_u32_e32 v9, vcc_lo, s29, v7, vcc_lo
	global_store_dword v[0:1], v3, off
	global_store_dword v[14:15], v18, off
	;; [unrolled: 1-line block ×5, first 2 shown]
.LBB0_2:
	s_endpgm
	.section	.rodata,"a",@progbits
	.p2align	6, 0x0
	.amdhsa_kernel bluestein_single_back_len135_dim1_half_op_CI_CI
		.amdhsa_group_segment_fixed_size 7560
		.amdhsa_private_segment_fixed_size 0
		.amdhsa_kernarg_size 104
		.amdhsa_user_sgpr_count 6
		.amdhsa_user_sgpr_private_segment_buffer 1
		.amdhsa_user_sgpr_dispatch_ptr 0
		.amdhsa_user_sgpr_queue_ptr 0
		.amdhsa_user_sgpr_kernarg_segment_ptr 1
		.amdhsa_user_sgpr_dispatch_id 0
		.amdhsa_user_sgpr_flat_scratch_init 0
		.amdhsa_user_sgpr_private_segment_size 0
		.amdhsa_wavefront_size32 1
		.amdhsa_uses_dynamic_stack 0
		.amdhsa_system_sgpr_private_segment_wavefront_offset 0
		.amdhsa_system_sgpr_workgroup_id_x 1
		.amdhsa_system_sgpr_workgroup_id_y 0
		.amdhsa_system_sgpr_workgroup_id_z 0
		.amdhsa_system_sgpr_workgroup_info 0
		.amdhsa_system_vgpr_workitem_id 0
		.amdhsa_next_free_vgpr 98
		.amdhsa_next_free_sgpr 32
		.amdhsa_reserve_vcc 1
		.amdhsa_reserve_flat_scratch 0
		.amdhsa_float_round_mode_32 0
		.amdhsa_float_round_mode_16_64 0
		.amdhsa_float_denorm_mode_32 3
		.amdhsa_float_denorm_mode_16_64 3
		.amdhsa_dx10_clamp 1
		.amdhsa_ieee_mode 1
		.amdhsa_fp16_overflow 0
		.amdhsa_workgroup_processor_mode 1
		.amdhsa_memory_ordered 1
		.amdhsa_forward_progress 0
		.amdhsa_shared_vgpr_count 0
		.amdhsa_exception_fp_ieee_invalid_op 0
		.amdhsa_exception_fp_denorm_src 0
		.amdhsa_exception_fp_ieee_div_zero 0
		.amdhsa_exception_fp_ieee_overflow 0
		.amdhsa_exception_fp_ieee_underflow 0
		.amdhsa_exception_fp_ieee_inexact 0
		.amdhsa_exception_int_div_zero 0
	.end_amdhsa_kernel
	.text
.Lfunc_end0:
	.size	bluestein_single_back_len135_dim1_half_op_CI_CI, .Lfunc_end0-bluestein_single_back_len135_dim1_half_op_CI_CI
                                        ; -- End function
	.section	.AMDGPU.csdata,"",@progbits
; Kernel info:
; codeLenInByte = 20156
; NumSgprs: 34
; NumVgprs: 98
; ScratchSize: 0
; MemoryBound: 0
; FloatMode: 240
; IeeeMode: 1
; LDSByteSize: 7560 bytes/workgroup (compile time only)
; SGPRBlocks: 4
; VGPRBlocks: 12
; NumSGPRsForWavesPerEU: 34
; NumVGPRsForWavesPerEU: 98
; Occupancy: 9
; WaveLimiterHint : 1
; COMPUTE_PGM_RSRC2:SCRATCH_EN: 0
; COMPUTE_PGM_RSRC2:USER_SGPR: 6
; COMPUTE_PGM_RSRC2:TRAP_HANDLER: 0
; COMPUTE_PGM_RSRC2:TGID_X_EN: 1
; COMPUTE_PGM_RSRC2:TGID_Y_EN: 0
; COMPUTE_PGM_RSRC2:TGID_Z_EN: 0
; COMPUTE_PGM_RSRC2:TIDIG_COMP_CNT: 0
	.text
	.p2alignl 6, 3214868480
	.fill 48, 4, 3214868480
	.type	__hip_cuid_e623522cb5449f3f,@object ; @__hip_cuid_e623522cb5449f3f
	.section	.bss,"aw",@nobits
	.globl	__hip_cuid_e623522cb5449f3f
__hip_cuid_e623522cb5449f3f:
	.byte	0                               ; 0x0
	.size	__hip_cuid_e623522cb5449f3f, 1

	.ident	"AMD clang version 19.0.0git (https://github.com/RadeonOpenCompute/llvm-project roc-6.4.0 25133 c7fe45cf4b819c5991fe208aaa96edf142730f1d)"
	.section	".note.GNU-stack","",@progbits
	.addrsig
	.addrsig_sym __hip_cuid_e623522cb5449f3f
	.amdgpu_metadata
---
amdhsa.kernels:
  - .args:
      - .actual_access:  read_only
        .address_space:  global
        .offset:         0
        .size:           8
        .value_kind:     global_buffer
      - .actual_access:  read_only
        .address_space:  global
        .offset:         8
        .size:           8
        .value_kind:     global_buffer
      - .actual_access:  read_only
        .address_space:  global
        .offset:         16
        .size:           8
        .value_kind:     global_buffer
      - .actual_access:  read_only
        .address_space:  global
        .offset:         24
        .size:           8
        .value_kind:     global_buffer
      - .actual_access:  read_only
        .address_space:  global
        .offset:         32
        .size:           8
        .value_kind:     global_buffer
      - .offset:         40
        .size:           8
        .value_kind:     by_value
      - .address_space:  global
        .offset:         48
        .size:           8
        .value_kind:     global_buffer
      - .address_space:  global
        .offset:         56
        .size:           8
        .value_kind:     global_buffer
      - .address_space:  global
        .offset:         64
        .size:           8
        .value_kind:     global_buffer
      - .address_space:  global
        .offset:         72
        .size:           8
        .value_kind:     global_buffer
      - .offset:         80
        .size:           4
        .value_kind:     by_value
      - .address_space:  global
        .offset:         88
        .size:           8
        .value_kind:     global_buffer
      - .address_space:  global
        .offset:         96
        .size:           8
        .value_kind:     global_buffer
    .group_segment_fixed_size: 7560
    .kernarg_segment_align: 8
    .kernarg_segment_size: 104
    .language:       OpenCL C
    .language_version:
      - 2
      - 0
    .max_flat_workgroup_size: 126
    .name:           bluestein_single_back_len135_dim1_half_op_CI_CI
    .private_segment_fixed_size: 0
    .sgpr_count:     34
    .sgpr_spill_count: 0
    .symbol:         bluestein_single_back_len135_dim1_half_op_CI_CI.kd
    .uniform_work_group_size: 1
    .uses_dynamic_stack: false
    .vgpr_count:     98
    .vgpr_spill_count: 0
    .wavefront_size: 32
    .workgroup_processor_mode: 1
amdhsa.target:   amdgcn-amd-amdhsa--gfx1030
amdhsa.version:
  - 1
  - 2
...

	.end_amdgpu_metadata
